;; amdgpu-corpus repo=ROCm/rocFFT kind=compiled arch=gfx1030 opt=O3
	.text
	.amdgcn_target "amdgcn-amd-amdhsa--gfx1030"
	.amdhsa_code_object_version 6
	.protected	fft_rtc_back_len1248_factors_2_2_13_2_3_2_2_wgs_52_tpt_52_halfLds_dp_op_CI_CI_sbrr_dirReg ; -- Begin function fft_rtc_back_len1248_factors_2_2_13_2_3_2_2_wgs_52_tpt_52_halfLds_dp_op_CI_CI_sbrr_dirReg
	.globl	fft_rtc_back_len1248_factors_2_2_13_2_3_2_2_wgs_52_tpt_52_halfLds_dp_op_CI_CI_sbrr_dirReg
	.p2align	8
	.type	fft_rtc_back_len1248_factors_2_2_13_2_3_2_2_wgs_52_tpt_52_halfLds_dp_op_CI_CI_sbrr_dirReg,@function
fft_rtc_back_len1248_factors_2_2_13_2_3_2_2_wgs_52_tpt_52_halfLds_dp_op_CI_CI_sbrr_dirReg: ; @fft_rtc_back_len1248_factors_2_2_13_2_3_2_2_wgs_52_tpt_52_halfLds_dp_op_CI_CI_sbrr_dirReg
; %bb.0:
	s_clause 0x2
	s_load_dwordx4 s[16:19], s[4:5], 0x18
	s_load_dwordx4 s[12:15], s[4:5], 0x0
	;; [unrolled: 1-line block ×3, first 2 shown]
	v_mul_u32_u24_e32 v2, 0x4ed, v0
	v_mov_b32_e32 v1, 0
	v_mov_b32_e32 v4, 0
	;; [unrolled: 1-line block ×3, first 2 shown]
	s_waitcnt lgkmcnt(0)
	s_load_dwordx2 s[20:21], s[16:17], 0x0
	s_load_dwordx2 s[2:3], s[18:19], 0x0
	v_cmp_lt_u64_e64 s0, s[14:15], 2
	v_add_nc_u32_sdwa v6, s6, v2 dst_sel:DWORD dst_unused:UNUSED_PAD src0_sel:DWORD src1_sel:WORD_1
	v_mov_b32_e32 v7, v1
	s_and_b32 vcc_lo, exec_lo, s0
	s_cbranch_vccnz .LBB0_8
; %bb.1:
	s_load_dwordx2 s[0:1], s[4:5], 0x10
	v_mov_b32_e32 v4, 0
	v_mov_b32_e32 v5, 0
	s_add_u32 s6, s18, 8
	s_addc_u32 s7, s19, 0
	s_add_u32 s22, s16, 8
	s_addc_u32 s23, s17, 0
	v_mov_b32_e32 v107, v5
	v_mov_b32_e32 v106, v4
	s_mov_b64 s[26:27], 1
	s_waitcnt lgkmcnt(0)
	s_add_u32 s24, s0, 8
	s_addc_u32 s25, s1, 0
.LBB0_2:                                ; =>This Inner Loop Header: Depth=1
	s_load_dwordx2 s[28:29], s[24:25], 0x0
                                        ; implicit-def: $vgpr108_vgpr109
	s_mov_b32 s0, exec_lo
	s_waitcnt lgkmcnt(0)
	v_or_b32_e32 v2, s29, v7
	v_cmpx_ne_u64_e32 0, v[1:2]
	s_xor_b32 s1, exec_lo, s0
	s_cbranch_execz .LBB0_4
; %bb.3:                                ;   in Loop: Header=BB0_2 Depth=1
	v_cvt_f32_u32_e32 v2, s28
	v_cvt_f32_u32_e32 v3, s29
	s_sub_u32 s0, 0, s28
	s_subb_u32 s30, 0, s29
	v_fmac_f32_e32 v2, 0x4f800000, v3
	v_rcp_f32_e32 v2, v2
	v_mul_f32_e32 v2, 0x5f7ffffc, v2
	v_mul_f32_e32 v3, 0x2f800000, v2
	v_trunc_f32_e32 v3, v3
	v_fmac_f32_e32 v2, 0xcf800000, v3
	v_cvt_u32_f32_e32 v3, v3
	v_cvt_u32_f32_e32 v2, v2
	v_mul_lo_u32 v8, s0, v3
	v_mul_hi_u32 v9, s0, v2
	v_mul_lo_u32 v10, s30, v2
	v_add_nc_u32_e32 v8, v9, v8
	v_mul_lo_u32 v9, s0, v2
	v_add_nc_u32_e32 v8, v8, v10
	v_mul_hi_u32 v10, v2, v9
	v_mul_lo_u32 v11, v2, v8
	v_mul_hi_u32 v12, v2, v8
	v_mul_hi_u32 v13, v3, v9
	v_mul_lo_u32 v9, v3, v9
	v_mul_hi_u32 v14, v3, v8
	v_mul_lo_u32 v8, v3, v8
	v_add_co_u32 v10, vcc_lo, v10, v11
	v_add_co_ci_u32_e32 v11, vcc_lo, 0, v12, vcc_lo
	v_add_co_u32 v9, vcc_lo, v10, v9
	v_add_co_ci_u32_e32 v9, vcc_lo, v11, v13, vcc_lo
	v_add_co_ci_u32_e32 v10, vcc_lo, 0, v14, vcc_lo
	v_add_co_u32 v8, vcc_lo, v9, v8
	v_add_co_ci_u32_e32 v9, vcc_lo, 0, v10, vcc_lo
	v_add_co_u32 v2, vcc_lo, v2, v8
	v_add_co_ci_u32_e32 v3, vcc_lo, v3, v9, vcc_lo
	v_mul_hi_u32 v8, s0, v2
	v_mul_lo_u32 v10, s30, v2
	v_mul_lo_u32 v9, s0, v3
	v_add_nc_u32_e32 v8, v8, v9
	v_mul_lo_u32 v9, s0, v2
	v_add_nc_u32_e32 v8, v8, v10
	v_mul_hi_u32 v10, v2, v9
	v_mul_lo_u32 v11, v2, v8
	v_mul_hi_u32 v12, v2, v8
	v_mul_hi_u32 v13, v3, v9
	v_mul_lo_u32 v9, v3, v9
	v_mul_hi_u32 v14, v3, v8
	v_mul_lo_u32 v8, v3, v8
	v_add_co_u32 v10, vcc_lo, v10, v11
	v_add_co_ci_u32_e32 v11, vcc_lo, 0, v12, vcc_lo
	v_add_co_u32 v9, vcc_lo, v10, v9
	v_add_co_ci_u32_e32 v9, vcc_lo, v11, v13, vcc_lo
	v_add_co_ci_u32_e32 v10, vcc_lo, 0, v14, vcc_lo
	v_add_co_u32 v8, vcc_lo, v9, v8
	v_add_co_ci_u32_e32 v9, vcc_lo, 0, v10, vcc_lo
	v_add_co_u32 v8, vcc_lo, v2, v8
	v_add_co_ci_u32_e32 v10, vcc_lo, v3, v9, vcc_lo
	v_mul_hi_u32 v12, v6, v8
	v_mad_u64_u32 v[8:9], null, v7, v8, 0
	v_mad_u64_u32 v[2:3], null, v6, v10, 0
	v_mad_u64_u32 v[10:11], null, v7, v10, 0
	v_add_co_u32 v2, vcc_lo, v12, v2
	v_add_co_ci_u32_e32 v3, vcc_lo, 0, v3, vcc_lo
	v_add_co_u32 v2, vcc_lo, v2, v8
	v_add_co_ci_u32_e32 v2, vcc_lo, v3, v9, vcc_lo
	v_add_co_ci_u32_e32 v3, vcc_lo, 0, v11, vcc_lo
	v_add_co_u32 v8, vcc_lo, v2, v10
	v_add_co_ci_u32_e32 v9, vcc_lo, 0, v3, vcc_lo
	v_mul_lo_u32 v10, s29, v8
	v_mad_u64_u32 v[2:3], null, s28, v8, 0
	v_mul_lo_u32 v11, s28, v9
	v_sub_co_u32 v2, vcc_lo, v6, v2
	v_add3_u32 v3, v3, v11, v10
	v_sub_nc_u32_e32 v10, v7, v3
	v_subrev_co_ci_u32_e64 v10, s0, s29, v10, vcc_lo
	v_add_co_u32 v11, s0, v8, 2
	v_add_co_ci_u32_e64 v12, s0, 0, v9, s0
	v_sub_co_u32 v13, s0, v2, s28
	v_sub_co_ci_u32_e32 v3, vcc_lo, v7, v3, vcc_lo
	v_subrev_co_ci_u32_e64 v10, s0, 0, v10, s0
	v_cmp_le_u32_e32 vcc_lo, s28, v13
	v_cmp_eq_u32_e64 s0, s29, v3
	v_cndmask_b32_e64 v13, 0, -1, vcc_lo
	v_cmp_le_u32_e32 vcc_lo, s29, v10
	v_cndmask_b32_e64 v14, 0, -1, vcc_lo
	v_cmp_le_u32_e32 vcc_lo, s28, v2
	;; [unrolled: 2-line block ×3, first 2 shown]
	v_cndmask_b32_e64 v15, 0, -1, vcc_lo
	v_cmp_eq_u32_e32 vcc_lo, s29, v10
	v_cndmask_b32_e64 v2, v15, v2, s0
	v_cndmask_b32_e32 v10, v14, v13, vcc_lo
	v_add_co_u32 v13, vcc_lo, v8, 1
	v_add_co_ci_u32_e32 v14, vcc_lo, 0, v9, vcc_lo
	v_cmp_ne_u32_e32 vcc_lo, 0, v10
	v_cndmask_b32_e32 v3, v14, v12, vcc_lo
	v_cndmask_b32_e32 v10, v13, v11, vcc_lo
	v_cmp_ne_u32_e32 vcc_lo, 0, v2
	v_cndmask_b32_e32 v109, v9, v3, vcc_lo
	v_cndmask_b32_e32 v108, v8, v10, vcc_lo
.LBB0_4:                                ;   in Loop: Header=BB0_2 Depth=1
	s_andn2_saveexec_b32 s0, s1
	s_cbranch_execz .LBB0_6
; %bb.5:                                ;   in Loop: Header=BB0_2 Depth=1
	v_cvt_f32_u32_e32 v2, s28
	s_sub_i32 s1, 0, s28
	v_mov_b32_e32 v109, v1
	v_rcp_iflag_f32_e32 v2, v2
	v_mul_f32_e32 v2, 0x4f7ffffe, v2
	v_cvt_u32_f32_e32 v2, v2
	v_mul_lo_u32 v3, s1, v2
	v_mul_hi_u32 v3, v2, v3
	v_add_nc_u32_e32 v2, v2, v3
	v_mul_hi_u32 v2, v6, v2
	v_mul_lo_u32 v3, v2, s28
	v_add_nc_u32_e32 v8, 1, v2
	v_sub_nc_u32_e32 v3, v6, v3
	v_subrev_nc_u32_e32 v9, s28, v3
	v_cmp_le_u32_e32 vcc_lo, s28, v3
	v_cndmask_b32_e32 v3, v3, v9, vcc_lo
	v_cndmask_b32_e32 v2, v2, v8, vcc_lo
	v_cmp_le_u32_e32 vcc_lo, s28, v3
	v_add_nc_u32_e32 v8, 1, v2
	v_cndmask_b32_e32 v108, v2, v8, vcc_lo
.LBB0_6:                                ;   in Loop: Header=BB0_2 Depth=1
	s_or_b32 exec_lo, exec_lo, s0
	v_mul_lo_u32 v8, v109, s28
	v_mul_lo_u32 v9, v108, s29
	s_load_dwordx2 s[0:1], s[22:23], 0x0
	v_mad_u64_u32 v[2:3], null, v108, s28, 0
	s_load_dwordx2 s[28:29], s[6:7], 0x0
	s_add_u32 s26, s26, 1
	s_addc_u32 s27, s27, 0
	s_add_u32 s6, s6, 8
	s_addc_u32 s7, s7, 0
	s_add_u32 s22, s22, 8
	v_add3_u32 v3, v3, v9, v8
	v_sub_co_u32 v2, vcc_lo, v6, v2
	s_addc_u32 s23, s23, 0
	s_add_u32 s24, s24, 8
	v_sub_co_ci_u32_e32 v3, vcc_lo, v7, v3, vcc_lo
	s_addc_u32 s25, s25, 0
	s_waitcnt lgkmcnt(0)
	v_mul_lo_u32 v6, s0, v3
	v_mul_lo_u32 v7, s1, v2
	v_mad_u64_u32 v[4:5], null, s0, v2, v[4:5]
	v_mul_lo_u32 v3, s28, v3
	v_mul_lo_u32 v8, s29, v2
	v_mad_u64_u32 v[106:107], null, s28, v2, v[106:107]
	v_cmp_ge_u64_e64 s0, s[26:27], s[14:15]
	v_add3_u32 v5, v7, v5, v6
	v_add3_u32 v107, v8, v107, v3
	s_and_b32 vcc_lo, exec_lo, s0
	s_cbranch_vccnz .LBB0_9
; %bb.7:                                ;   in Loop: Header=BB0_2 Depth=1
	v_mov_b32_e32 v6, v108
	v_mov_b32_e32 v7, v109
	s_branch .LBB0_2
.LBB0_8:
	v_mov_b32_e32 v107, v5
	v_mov_b32_e32 v109, v7
	;; [unrolled: 1-line block ×4, first 2 shown]
.LBB0_9:
	s_load_dwordx2 s[0:1], s[4:5], 0x28
	v_mul_hi_u32 v1, 0x4ec4ec5, v0
	s_lshl_b64 s[6:7], s[14:15], 3
                                        ; implicit-def: $vgpr104
                                        ; implicit-def: $vgpr118
                                        ; implicit-def: $vgpr120
                                        ; implicit-def: $vgpr122
                                        ; implicit-def: $vgpr124
                                        ; implicit-def: $vgpr126
                                        ; implicit-def: $vgpr110
                                        ; implicit-def: $vgpr111
                                        ; implicit-def: $vgpr112
                                        ; implicit-def: $vgpr113
                                        ; implicit-def: $vgpr115
                                        ; implicit-def: $vgpr117
	s_add_u32 s4, s18, s6
	s_addc_u32 s5, s19, s7
	s_waitcnt lgkmcnt(0)
	v_cmp_gt_u64_e32 vcc_lo, s[0:1], v[108:109]
	v_cmp_le_u64_e64 s0, s[0:1], v[108:109]
	s_and_saveexec_b32 s1, s0
	s_xor_b32 s0, exec_lo, s1
	s_cbranch_execz .LBB0_11
; %bb.10:
	v_mul_u32_u24_e32 v1, 52, v1
                                        ; implicit-def: $vgpr4_vgpr5
	v_sub_nc_u32_e32 v104, v0, v1
                                        ; implicit-def: $vgpr1
                                        ; implicit-def: $vgpr0
	v_add_nc_u32_e32 v118, 52, v104
	v_add_nc_u32_e32 v120, 0x68, v104
	;; [unrolled: 1-line block ×11, first 2 shown]
.LBB0_11:
	s_or_saveexec_b32 s1, s0
                                        ; implicit-def: $vgpr50_vgpr51
                                        ; implicit-def: $vgpr2_vgpr3
                                        ; implicit-def: $vgpr46_vgpr47
                                        ; implicit-def: $vgpr6_vgpr7
                                        ; implicit-def: $vgpr54_vgpr55
                                        ; implicit-def: $vgpr10_vgpr11
                                        ; implicit-def: $vgpr58_vgpr59
                                        ; implicit-def: $vgpr14_vgpr15
                                        ; implicit-def: $vgpr62_vgpr63
                                        ; implicit-def: $vgpr18_vgpr19
                                        ; implicit-def: $vgpr66_vgpr67
                                        ; implicit-def: $vgpr22_vgpr23
                                        ; implicit-def: $vgpr70_vgpr71
                                        ; implicit-def: $vgpr26_vgpr27
                                        ; implicit-def: $vgpr74_vgpr75
                                        ; implicit-def: $vgpr30_vgpr31
                                        ; implicit-def: $vgpr78_vgpr79
                                        ; implicit-def: $vgpr34_vgpr35
                                        ; implicit-def: $vgpr82_vgpr83
                                        ; implicit-def: $vgpr38_vgpr39
                                        ; implicit-def: $vgpr86_vgpr87
                                        ; implicit-def: $vgpr42_vgpr43
                                        ; implicit-def: $vgpr94_vgpr95
                                        ; implicit-def: $vgpr90_vgpr91
	s_xor_b32 exec_lo, exec_lo, s1
	s_cbranch_execz .LBB0_13
; %bb.12:
	s_add_u32 s6, s16, s6
	s_addc_u32 s7, s17, s7
	v_mul_u32_u24_e32 v1, 52, v1
	s_load_dwordx2 s[6:7], s[6:7], 0x0
	v_lshlrev_b64 v[2:3], 4, v[4:5]
	v_sub_nc_u32_e32 v104, v0, v1
	v_add_nc_u32_e32 v13, 0x270, v104
	v_mad_u64_u32 v[0:1], null, s20, v104, 0
	v_add_nc_u32_e32 v118, 52, v104
	v_add_nc_u32_e32 v16, 0x2a4, v104
	v_mad_u64_u32 v[4:5], null, s20, v13, 0
	v_add_nc_u32_e32 v120, 0x68, v104
	v_mad_u64_u32 v[6:7], null, s20, v118, 0
	v_mad_u64_u32 v[10:11], null, s21, v104, v[1:2]
	s_waitcnt lgkmcnt(0)
	v_mul_lo_u32 v14, s7, v108
	v_mul_lo_u32 v15, s6, v109
	v_mad_u64_u32 v[8:9], null, s6, v108, 0
	v_mov_b32_e32 v1, v5
	v_mad_u64_u32 v[11:12], null, s20, v16, 0
	v_mov_b32_e32 v5, v7
	v_add_nc_u32_e32 v122, 0x9c, v104
	v_add_nc_u32_e32 v22, 0x30c, v104
	v_add3_u32 v9, v9, v15, v14
	v_mad_u64_u32 v[13:14], null, s21, v13, v[1:2]
	v_mov_b32_e32 v1, v10
	v_mad_u64_u32 v[14:15], null, s20, v120, 0
	v_lshlrev_b64 v[7:8], 4, v[8:9]
	v_mad_u64_u32 v[9:10], null, s21, v118, v[5:6]
	v_mov_b32_e32 v10, v12
	v_mov_b32_e32 v5, v13
	v_lshlrev_b64 v[0:1], 4, v[0:1]
	v_add_co_u32 v12, s0, s8, v7
	v_add_co_ci_u32_e64 v13, s0, s9, v8, s0
	v_mov_b32_e32 v7, v9
	v_add_co_u32 v8, s0, v12, v2
	v_add_co_ci_u32_e64 v9, s0, v13, v3, s0
	v_lshlrev_b64 v[2:3], 4, v[4:5]
	v_mad_u64_u32 v[4:5], null, s21, v16, v[10:11]
	v_add_nc_u32_e32 v13, 0x2d8, v104
	v_add_co_u32 v0, s0, v8, v0
	v_lshlrev_b64 v[5:6], 4, v[6:7]
	v_add_co_ci_u32_e64 v1, s0, v9, v1, s0
	v_add_co_u32 v2, s0, v8, v2
	v_mov_b32_e32 v7, v15
	v_mov_b32_e32 v12, v4
	v_mad_u64_u32 v[16:17], null, s20, v13, 0
	v_add_co_ci_u32_e64 v3, s0, v9, v3, s0
	v_add_co_u32 v4, s0, v8, v5
	v_mad_u64_u32 v[18:19], null, s21, v120, v[7:8]
	v_add_co_ci_u32_e64 v5, s0, v9, v6, s0
	v_lshlrev_b64 v[6:7], 4, v[11:12]
	v_mad_u64_u32 v[11:12], null, s20, v122, 0
	v_mov_b32_e32 v10, v17
	v_mov_b32_e32 v15, v18
	v_add_nc_u32_e32 v124, 0xd0, v104
	v_add_co_u32 v6, s0, v8, v6
	v_add_co_ci_u32_e64 v7, s0, v9, v7, s0
	v_mad_u64_u32 v[17:18], null, s21, v13, v[10:11]
	v_mov_b32_e32 v10, v12
	v_mad_u64_u32 v[18:19], null, s20, v22, 0
	v_lshlrev_b64 v[13:14], 4, v[14:15]
	v_or_b32_e32 v26, 0x340, v104
	v_mad_u64_u32 v[20:21], null, s21, v122, v[10:11]
	v_add_nc_u32_e32 v126, 0x104, v104
	v_add_nc_u32_e32 v30, 0x374, v104
	v_mov_b32_e32 v10, v19
	v_add_co_u32 v13, s0, v8, v13
	v_add_nc_u32_e32 v110, 0x138, v104
	v_mov_b32_e32 v12, v20
	v_mad_u64_u32 v[20:21], null, s20, v124, 0
	v_mad_u64_u32 v[22:23], null, s21, v22, v[10:11]
	v_lshlrev_b64 v[10:11], 4, v[11:12]
	v_add_nc_u32_e32 v33, 0x3a8, v104
	v_lshlrev_b64 v[15:16], 4, v[16:17]
	v_add_co_ci_u32_e64 v14, s0, v9, v14, s0
	v_mov_b32_e32 v12, v21
	v_mov_b32_e32 v19, v22
	v_mad_u64_u32 v[22:23], null, s20, v26, 0
	v_add_co_u32 v15, s0, v8, v15
	v_mad_u64_u32 v[24:25], null, s21, v124, v[12:13]
	v_lshlrev_b64 v[17:18], 4, v[18:19]
	v_add_co_ci_u32_e64 v16, s0, v9, v16, s0
	v_mov_b32_e32 v12, v23
	v_add_co_u32 v10, s0, v8, v10
	v_mov_b32_e32 v21, v24
	v_mad_u64_u32 v[24:25], null, s20, v126, 0
	v_mad_u64_u32 v[26:27], null, s21, v26, v[12:13]
	v_lshlrev_b64 v[19:20], 4, v[20:21]
	v_add_co_ci_u32_e64 v11, s0, v9, v11, s0
	v_add_nc_u32_e32 v111, 0x16c, v104
	v_mov_b32_e32 v12, v25
	v_add_co_u32 v17, s0, v8, v17
	v_mov_b32_e32 v23, v26
	v_mad_u64_u32 v[26:27], null, s20, v30, 0
	v_mad_u64_u32 v[28:29], null, s21, v126, v[12:13]
	v_lshlrev_b64 v[21:22], 4, v[22:23]
	v_add_co_ci_u32_e64 v18, s0, v9, v18, s0
	v_add_co_u32 v19, s0, v8, v19
	v_mov_b32_e32 v12, v27
	v_mov_b32_e32 v25, v28
	v_mad_u64_u32 v[28:29], null, s20, v110, 0
	v_add_co_ci_u32_e64 v20, s0, v9, v20, s0
	v_mad_u64_u32 v[30:31], null, s21, v30, v[12:13]
	v_mad_u64_u32 v[31:32], null, s20, v33, 0
	v_mov_b32_e32 v12, v29
	v_lshlrev_b64 v[23:24], 4, v[24:25]
	v_add_co_u32 v21, s0, v8, v21
	v_mov_b32_e32 v27, v30
	v_mad_u64_u32 v[29:30], null, s21, v110, v[12:13]
	v_mov_b32_e32 v12, v32
	v_add_co_ci_u32_e64 v22, s0, v9, v22, s0
	v_lshlrev_b64 v[25:26], 4, v[26:27]
	v_add_co_u32 v23, s0, v8, v23
	v_mad_u64_u32 v[32:33], null, s21, v33, v[12:13]
	v_mad_u64_u32 v[33:34], null, s20, v111, 0
	v_add_nc_u32_e32 v37, 0x3dc, v104
	v_add_co_ci_u32_e64 v24, s0, v9, v24, s0
	v_add_co_u32 v44, s0, v8, v25
	v_add_co_ci_u32_e64 v45, s0, v9, v26, s0
	v_mov_b32_e32 v12, v34
	v_lshlrev_b64 v[25:26], 4, v[28:29]
	v_mad_u64_u32 v[27:28], null, s20, v37, 0
	v_add_nc_u32_e32 v112, 0x1a0, v104
	v_mad_u64_u32 v[29:30], null, s21, v111, v[12:13]
	v_add_co_u32 v46, s0, v8, v25
	v_mad_u64_u32 v[35:36], null, s20, v112, 0
	v_add_co_ci_u32_e64 v47, s0, v9, v26, s0
	v_mov_b32_e32 v12, v28
	v_lshlrev_b64 v[25:26], 4, v[31:32]
	v_add_nc_u32_e32 v38, 0x410, v104
	v_mov_b32_e32 v34, v29
	v_add_nc_u32_e32 v113, 0x1d4, v104
	v_mad_u64_u32 v[28:29], null, s21, v37, v[12:13]
	v_mov_b32_e32 v12, v36
	v_mad_u64_u32 v[29:30], null, s20, v38, 0
	v_add_co_u32 v48, s0, v8, v25
	v_add_co_ci_u32_e64 v49, s0, v9, v26, s0
	v_lshlrev_b64 v[25:26], 4, v[33:34]
	v_mad_u64_u32 v[31:32], null, s21, v112, v[12:13]
	v_mov_b32_e32 v12, v30
	v_add_nc_u32_e32 v37, 0x444, v104
	v_add_nc_u32_e32 v115, 0x208, v104
	v_add_co_u32 v50, s0, v8, v25
	v_add_co_ci_u32_e64 v51, s0, v9, v26, s0
	v_lshlrev_b64 v[25:26], 4, v[27:28]
	v_mov_b32_e32 v36, v31
	v_mad_u64_u32 v[27:28], null, s21, v38, v[12:13]
	v_mad_u64_u32 v[31:32], null, s20, v113, 0
	v_add_co_u32 v52, s0, v8, v25
	v_add_co_ci_u32_e64 v53, s0, v9, v26, s0
	v_lshlrev_b64 v[25:26], 4, v[35:36]
	v_mad_u64_u32 v[33:34], null, s20, v37, 0
	v_mov_b32_e32 v30, v27
	v_mov_b32_e32 v12, v32
	v_add_nc_u32_e32 v38, 0x478, v104
	v_add_co_u32 v54, s0, v8, v25
	v_add_co_ci_u32_e64 v55, s0, v9, v26, s0
	v_lshlrev_b64 v[25:26], 4, v[29:30]
	v_mad_u64_u32 v[28:29], null, s21, v113, v[12:13]
	v_mad_u64_u32 v[29:30], null, s20, v115, 0
	v_mov_b32_e32 v27, v34
	v_add_co_u32 v56, s0, v8, v25
	v_add_co_ci_u32_e64 v57, s0, v9, v26, s0
	v_mad_u64_u32 v[34:35], null, s21, v37, v[27:28]
	v_mad_u64_u32 v[35:36], null, s20, v38, 0
	v_mov_b32_e32 v12, v30
	v_mov_b32_e32 v32, v28
	v_add_nc_u32_e32 v117, 0x23c, v104
	v_add_nc_u32_e32 v41, 0x4ac, v104
	v_mad_u64_u32 v[26:27], null, s21, v115, v[12:13]
	v_mov_b32_e32 v25, v36
	v_lshlrev_b64 v[27:28], 4, v[31:32]
	v_mad_u64_u32 v[39:40], null, s20, v41, 0
	v_mad_u64_u32 v[31:32], null, s21, v38, v[25:26]
	v_mad_u64_u32 v[37:38], null, s20, v117, 0
	v_mov_b32_e32 v30, v26
	v_add_co_u32 v96, s0, v8, v27
	v_add_co_ci_u32_e64 v97, s0, v9, v28, s0
	v_lshlrev_b64 v[25:26], 4, v[29:30]
	v_mov_b32_e32 v12, v38
	v_mov_b32_e32 v27, v40
	v_lshlrev_b64 v[32:33], 4, v[33:34]
	v_mov_b32_e32 v36, v31
	v_mad_u64_u32 v[28:29], null, s21, v117, v[12:13]
	v_add_co_u32 v98, s0, v8, v32
	v_add_co_ci_u32_e64 v99, s0, v9, v33, s0
	v_add_co_u32 v100, s0, v8, v25
	v_mad_u64_u32 v[29:30], null, s21, v41, v[27:28]
	v_mov_b32_e32 v38, v28
	v_lshlrev_b64 v[30:31], 4, v[35:36]
	v_add_co_ci_u32_e64 v101, s0, v9, v26, s0
	v_lshlrev_b64 v[25:26], 4, v[37:38]
	v_mov_b32_e32 v40, v29
	v_add_co_u32 v102, s0, v8, v30
	v_add_co_ci_u32_e64 v103, s0, v9, v31, s0
	v_lshlrev_b64 v[27:28], 4, v[39:40]
	v_add_co_u32 v127, s0, v8, v25
	v_add_co_ci_u32_e64 v128, s0, v9, v26, s0
	v_add_co_u32 v129, s0, v8, v27
	v_add_co_ci_u32_e64 v130, s0, v9, v28, s0
	s_clause 0x17
	global_load_dwordx4 v[88:91], v[0:1], off
	global_load_dwordx4 v[92:95], v[2:3], off
	;; [unrolled: 1-line block ×24, first 2 shown]
.LBB0_13:
	s_or_b32 exec_lo, exec_lo, s1
	s_waitcnt vmcnt(16)
	v_add_f64 v[135:136], v[32:33], -v[76:77]
	v_add_f64 v[100:101], v[40:41], -v[84:85]
	;; [unrolled: 1-line block ×3, first 2 shown]
	s_waitcnt vmcnt(14)
	v_add_f64 v[139:140], v[28:29], -v[72:73]
	s_waitcnt vmcnt(12)
	v_add_f64 v[143:144], v[24:25], -v[68:69]
	v_add_f64 v[96:97], v[88:89], -v[92:93]
	s_waitcnt vmcnt(10)
	v_add_f64 v[147:148], v[20:21], -v[64:65]
	s_waitcnt vmcnt(8)
	;; [unrolled: 2-line block ×6, first 2 shown]
	v_add_f64 v[167:168], v[0:1], -v[48:49]
	v_add_f64 v[92:93], v[90:91], -v[94:95]
	;; [unrolled: 1-line block ×7, first 2 shown]
	v_lshl_add_u32 v76, v104, 4, 0
	v_lshl_add_u32 v77, v118, 4, 0
	;; [unrolled: 1-line block ×4, first 2 shown]
	v_fma_f64 v[133:134], v[32:33], 2.0, -v[135:136]
	v_add_f64 v[32:33], v[30:31], -v[74:75]
	v_add_f64 v[74:75], v[2:3], -v[50:51]
	v_fma_f64 v[98:99], v[40:41], 2.0, -v[100:101]
	v_add_f64 v[40:41], v[38:39], -v[82:83]
	v_fma_f64 v[129:130], v[36:37], 2.0, -v[131:132]
	;; [unrolled: 2-line block ×5, first 2 shown]
	v_fma_f64 v[145:146], v[20:21], 2.0, -v[147:148]
	v_fma_f64 v[149:150], v[16:17], 2.0, -v[151:152]
	;; [unrolled: 1-line block ×15, first 2 shown]
	v_lshl_add_u32 v128, v124, 4, 0
	v_fma_f64 v[34:35], v[34:35], 2.0, -v[36:37]
	v_lshl_add_u32 v125, v126, 4, 0
	v_fma_f64 v[26:27], v[26:27], 2.0, -v[28:29]
	;; [unrolled: 2-line block ×3, first 2 shown]
	v_lshl_add_u32 v121, v111, 4, 0
	v_lshl_add_u32 v119, v112, 4, 0
	;; [unrolled: 1-line block ×5, first 2 shown]
	ds_write_b128 v76, v[94:97]
	ds_write_b128 v77, v[98:101]
	;; [unrolled: 1-line block ×12, first 2 shown]
	v_lshl_add_u32 v192, v104, 3, 0
	v_lshlrev_b32_e32 v201, 3, v112
	v_and_b32_e32 v101, 1, v104
	v_lshlrev_b32_e32 v202, 3, v113
	v_lshlrev_b32_e32 v203, 3, v115
	;; [unrolled: 1-line block ×5, first 2 shown]
	v_add_nc_u32_e32 v158, 0x1000, v192
	v_add_nc_u32_e32 v4, 0x1400, v192
	v_lshlrev_b32_e32 v198, 3, v126
	v_lshlrev_b32_e32 v199, 3, v110
	;; [unrolled: 1-line block ×3, first 2 shown]
	v_sub_nc_u32_e32 v157, v119, v201
	v_lshlrev_b32_e32 v6, 4, v101
	v_lshl_add_u32 v193, v118, 3, 0
	v_add_nc_u32_e32 v159, 0x1800, v192
	v_sub_nc_u32_e32 v175, v116, v202
	v_lshl_add_u32 v194, v120, 3, 0
	v_sub_nc_u32_e32 v176, v114, v203
	v_sub_nc_u32_e32 v156, v195, v205
	v_add_nc_u32_e32 v5, 0x2000, v192
	v_sub_nc_u32_e32 v177, v105, v204
	v_sub_nc_u32_e32 v100, v128, v197
	s_load_dwordx2 s[4:5], s[4:5], 0x0
	s_waitcnt lgkmcnt(0)
	s_barrier
	buffer_gl0_inv
	v_sub_nc_u32_e32 v134, v125, v198
	v_sub_nc_u32_e32 v136, v123, v199
	;; [unrolled: 1-line block ×3, first 2 shown]
	ds_read_b64 v[20:21], v192
	ds_read_b64 v[62:63], v193
	;; [unrolled: 1-line block ×12, first 2 shown]
	ds_read2_b64 v[68:71], v158 offset0:112 offset1:164
	ds_read2_b64 v[64:67], v4 offset0:88 offset1:140
	;; [unrolled: 1-line block ×6, first 2 shown]
	s_waitcnt lgkmcnt(0)
	s_barrier
	buffer_gl0_inv
	ds_write_b128 v76, v[90:93]
	ds_write_b128 v77, v[42:45]
	;; [unrolled: 1-line block ×12, first 2 shown]
	s_waitcnt lgkmcnt(0)
	s_barrier
	buffer_gl0_inv
	global_load_dwordx4 v[72:75], v6, s[12:13]
	ds_read2_b64 v[76:79], v158 offset0:112 offset1:164
	ds_read2_b64 v[80:83], v4 offset0:88 offset1:140
	ds_read2_b64 v[84:87], v159 offset0:64 offset1:116
	ds_read2_b64 v[88:91], v159 offset0:168 offset1:220
	ds_read2_b64 v[92:95], v5 offset0:16 offset1:68
	ds_read2_b64 v[96:99], v5 offset0:120 offset1:172
	v_lshlrev_b32_e32 v44, 1, v120
	v_lshlrev_b32_e32 v45, 1, v122
	;; [unrolled: 1-line block ×5, first 2 shown]
	v_and_or_b32 v56, 0x1fc, v44, v101
	v_and_or_b32 v57, 0x1fc, v45, v101
	;; [unrolled: 1-line block ×4, first 2 shown]
	v_lshlrev_b32_e32 v49, 1, v111
	v_lshlrev_b32_e32 v50, 1, v112
	;; [unrolled: 1-line block ×7, first 2 shown]
	v_lshl_add_u32 v167, v46, 3, 0
	v_lshl_add_u32 v168, v47, 3, 0
	v_and_or_b32 v60, 0x2fc, v48, v101
	v_and_or_b32 v61, 0x3fc, v49, v101
	v_and_or_b32 v135, 0x3fc, v50, v101
	v_and_or_b32 v137, 0x7fc, v51, v101
	v_and_or_b32 v54, 0x7c, v127, v101
	v_and_or_b32 v55, 0xfc, v129, v101
	v_and_or_b32 v139, 0x4fc, v52, v101
	v_and_or_b32 v101, 0x4fc, v53, v101
	v_lshl_add_u32 v169, v60, 3, 0
	v_lshl_add_u32 v163, v54, 3, 0
	;; [unrolled: 1-line block ×6, first 2 shown]
	v_add_nc_u32_e32 v161, 0x400, v192
	v_add_nc_u32_e32 v162, 0x800, v192
	v_lshl_add_u32 v171, v135, 3, 0
	v_lshl_add_u32 v172, v137, 3, 0
	;; [unrolled: 1-line block ×4, first 2 shown]
	ds_read_b64 v[100:101], v100
	ds_read_b64 v[134:135], v134
	;; [unrolled: 1-line block ×4, first 2 shown]
	v_add_nc_u32_e32 v160, 0x1c00, v192
	v_cmp_gt_u32_e64 s0, 44, v104
	s_waitcnt vmcnt(0) lgkmcnt(9)
	v_mul_f64 v[6:7], v[76:77], v[74:75]
	v_mul_f64 v[22:23], v[78:79], v[74:75]
	s_waitcnt lgkmcnt(8)
	v_mul_f64 v[24:25], v[80:81], v[74:75]
	v_mul_f64 v[26:27], v[82:83], v[74:75]
	s_waitcnt lgkmcnt(7)
	;; [unrolled: 3-line block ×5, first 2 shown]
	v_mul_f64 v[40:41], v[96:97], v[74:75]
	v_mul_f64 v[42:43], v[98:99], v[74:75]
	v_fma_f64 v[6:7], v[68:69], v[72:73], v[6:7]
	v_fma_f64 v[22:23], v[70:71], v[72:73], v[22:23]
	;; [unrolled: 1-line block ×12, first 2 shown]
	v_add_f64 v[6:7], v[20:21], -v[6:7]
	v_add_f64 v[22:23], v[62:63], -v[22:23]
	;; [unrolled: 1-line block ×12, first 2 shown]
	v_fma_f64 v[20:21], v[20:21], 2.0, -v[6:7]
	v_fma_f64 v[40:41], v[62:63], 2.0, -v[22:23]
	;; [unrolled: 1-line block ×12, first 2 shown]
	ds_read_b64 v[140:141], v157
	ds_read_b64 v[142:143], v175
	;; [unrolled: 1-line block ×8, first 2 shown]
	s_waitcnt lgkmcnt(0)
	s_barrier
	buffer_gl0_inv
	ds_write2_b64 v163, v[20:21], v[6:7] offset1:2
	ds_write2_b64 v164, v[40:41], v[22:23] offset1:2
	;; [unrolled: 1-line block ×12, first 2 shown]
	s_waitcnt lgkmcnt(0)
	s_barrier
	buffer_gl0_inv
	ds_read_b64 v[148:149], v192 offset:9216
	ds_read2_b64 v[20:23], v192 offset1:96
	ds_read2_b64 v[60:63], v161 offset0:64 offset1:160
	ds_read2_b64 v[52:55], v162 offset0:128 offset1:224
	;; [unrolled: 1-line block ×3, first 2 shown]
	ds_read2_b64 v[44:47], v159 offset1:96
	ds_read2_b64 v[40:43], v160 offset0:64 offset1:160
                                        ; implicit-def: $vgpr6_vgpr7
	s_and_saveexec_b32 s1, s0
	s_cbranch_execz .LBB0_15
; %bb.14:
	ds_read_b64 v[132:133], v193
	ds_read2_b64 v[56:59], v192 offset0:148 offset1:244
	ds_read2_b64 v[36:39], v162 offset0:84 offset1:180
	;; [unrolled: 1-line block ×6, first 2 shown]
.LBB0_15:
	s_or_b32 exec_lo, exec_lo, s1
	v_mul_f64 v[68:69], v[68:69], v[74:75]
	v_mul_f64 v[70:71], v[70:71], v[74:75]
	v_mul_f64 v[64:65], v[64:65], v[74:75]
	v_mul_f64 v[66:67], v[66:67], v[74:75]
	v_mul_f64 v[16:17], v[16:17], v[74:75]
	v_mul_f64 v[18:19], v[18:19], v[74:75]
	v_mul_f64 v[12:13], v[12:13], v[74:75]
	v_mul_f64 v[14:15], v[14:15], v[74:75]
	v_mul_f64 v[8:9], v[8:9], v[74:75]
	v_mul_f64 v[10:11], v[10:11], v[74:75]
	v_mul_f64 v[0:1], v[0:1], v[74:75]
	v_mul_f64 v[2:3], v[2:3], v[74:75]
	s_waitcnt lgkmcnt(0)
	s_barrier
	buffer_gl0_inv
	v_fma_f64 v[68:69], v[76:77], v[72:73], -v[68:69]
	v_fma_f64 v[70:71], v[78:79], v[72:73], -v[70:71]
	v_fma_f64 v[64:65], v[80:81], v[72:73], -v[64:65]
	v_fma_f64 v[66:67], v[82:83], v[72:73], -v[66:67]
	v_fma_f64 v[16:17], v[84:85], v[72:73], -v[16:17]
	v_fma_f64 v[18:19], v[86:87], v[72:73], -v[18:19]
	v_fma_f64 v[12:13], v[88:89], v[72:73], -v[12:13]
	v_fma_f64 v[14:15], v[90:91], v[72:73], -v[14:15]
	v_fma_f64 v[8:9], v[92:93], v[72:73], -v[8:9]
	v_fma_f64 v[10:11], v[94:95], v[72:73], -v[10:11]
	v_fma_f64 v[0:1], v[96:97], v[72:73], -v[0:1]
	v_fma_f64 v[2:3], v[98:99], v[72:73], -v[2:3]
	v_add_f64 v[76:77], v[152:153], -v[68:69]
	v_add_f64 v[78:79], v[154:155], -v[70:71]
	;; [unrolled: 1-line block ×12, first 2 shown]
	v_fma_f64 v[0:1], v[152:153], 2.0, -v[76:77]
	v_fma_f64 v[2:3], v[154:155], 2.0, -v[78:79]
	;; [unrolled: 1-line block ×12, first 2 shown]
	ds_write2_b64 v163, v[0:1], v[76:77] offset1:2
	ds_write2_b64 v164, v[2:3], v[78:79] offset1:2
	;; [unrolled: 1-line block ×12, first 2 shown]
	s_waitcnt lgkmcnt(0)
	s_barrier
	buffer_gl0_inv
	ds_read2_b64 v[0:3], v192 offset1:96
	ds_read2_b64 v[96:99], v161 offset0:64 offset1:160
	ds_read2_b64 v[92:95], v162 offset0:128 offset1:224
	;; [unrolled: 1-line block ×3, first 2 shown]
	ds_read2_b64 v[80:83], v159 offset1:96
	ds_read2_b64 v[76:79], v160 offset0:64 offset1:160
	ds_read_b64 v[150:151], v192 offset:9216
                                        ; implicit-def: $vgpr10_vgpr11
	s_and_saveexec_b32 s1, s0
	s_cbranch_execz .LBB0_17
; %bb.16:
	v_add_nc_u32_e32 v8, 0x800, v192
	v_add_nc_u32_e32 v9, 0x1000, v192
	;; [unrolled: 1-line block ×5, first 2 shown]
	ds_read_b64 v[130:131], v193
	ds_read2_b64 v[100:103], v192 offset0:148 offset1:244
	ds_read2_b64 v[84:87], v8 offset0:84 offset1:180
	;; [unrolled: 1-line block ×6, first 2 shown]
.LBB0_17:
	s_or_b32 exec_lo, exec_lo, s1
	v_and_b32_e32 v196, 3, v104
	s_mov_b32 s6, 0x42a4c3d2
	s_mov_b32 s14, 0x66966769
	;; [unrolled: 1-line block ×4, first 2 shown]
	v_mul_u32_u24_e32 v12, 12, v196
	s_mov_b32 s15, 0xbfefc445
	s_mov_b32 s17, 0xbfedeba7
	;; [unrolled: 1-line block ×4, first 2 shown]
	v_lshlrev_b32_e32 v134, 4, v12
	s_mov_b32 s30, 0xebaa3ed8
	s_mov_b32 s34, 0xb2365da1
	;; [unrolled: 1-line block ×4, first 2 shown]
	s_clause 0xb
	global_load_dwordx4 v[136:139], v134, s[12:13] offset:32
	global_load_dwordx4 v[142:145], v134, s[12:13] offset:48
	;; [unrolled: 1-line block ×12, first 2 shown]
	s_mov_b32 s9, 0xbfddbe06
	s_mov_b32 s23, 0x3fe22d96
	;; [unrolled: 1-line block ×24, first 2 shown]
	v_sub_nc_u32_e32 v205, 0, v205
	s_waitcnt vmcnt(0) lgkmcnt(0)
	s_barrier
	buffer_gl0_inv
	v_mul_f64 v[134:135], v[2:3], v[138:139]
	v_mul_f64 v[140:141], v[22:23], v[138:139]
	;; [unrolled: 1-line block ×11, first 2 shown]
	v_fma_f64 v[138:139], v[22:23], v[136:137], v[134:135]
	v_fma_f64 v[140:141], v[2:3], v[136:137], -v[140:141]
	v_fma_f64 v[134:135], v[56:57], v[136:137], v[146:147]
	v_fma_f64 v[100:101], v[100:101], v[136:137], -v[184:185]
	v_mul_f64 v[22:23], v[62:63], v[154:155]
	v_mul_f64 v[136:137], v[92:93], v[158:159]
	v_fma_f64 v[56:57], v[58:59], v[142:143], v[186:187]
	v_mul_f64 v[184:185], v[94:95], v[162:163]
	v_mul_f64 v[186:187], v[84:85], v[154:155]
	v_fma_f64 v[58:59], v[102:103], v[142:143], -v[188:189]
	v_mul_f64 v[102:103], v[36:37], v[154:155]
	v_mul_f64 v[154:155], v[148:149], v[14:15]
	v_fma_f64 v[146:147], v[60:61], v[142:143], v[190:191]
	v_fma_f64 v[2:3], v[96:97], v[142:143], -v[144:145]
	v_mul_f64 v[96:97], v[86:87], v[158:159]
	v_mul_f64 v[188:189], v[38:39], v[158:159]
	v_fma_f64 v[144:145], v[62:63], v[152:153], v[206:207]
	v_mul_f64 v[158:159], v[52:53], v[158:159]
	v_mul_f64 v[190:191], v[54:55], v[162:163]
	v_mul_f64 v[206:207], v[90:91], v[170:171]
	v_fma_f64 v[98:99], v[98:99], v[152:153], -v[22:23]
	v_mul_f64 v[22:23], v[88:89], v[166:167]
	v_fma_f64 v[142:143], v[52:53], v[156:157], v[136:137]
	v_fma_f64 v[136:137], v[54:55], v[160:161], v[184:185]
	v_mul_f64 v[184:185], v[42:43], v[18:19]
	v_fma_f64 v[60:61], v[36:37], v[152:153], v[186:187]
	v_fma_f64 v[52:53], v[84:85], v[152:153], -v[102:103]
	v_mul_f64 v[36:37], v[50:51], v[170:171]
	v_mul_f64 v[152:153], v[80:81], v[174:175]
	v_fma_f64 v[62:63], v[150:151], v[12:13], -v[154:155]
	v_mul_f64 v[150:151], v[150:151], v[14:15]
	v_mul_f64 v[186:187], v[82:83], v[178:179]
	v_fma_f64 v[54:55], v[38:39], v[156:157], v[96:97]
	v_mul_f64 v[154:155], v[44:45], v[174:175]
	v_fma_f64 v[38:39], v[86:87], v[156:157], -v[188:189]
	v_mul_f64 v[188:189], v[46:47], v[178:179]
	v_fma_f64 v[96:97], v[92:93], v[156:157], -v[158:159]
	v_mul_f64 v[156:157], v[40:41], v[182:183]
	v_mul_f64 v[158:159], v[78:79], v[18:19]
	v_fma_f64 v[92:93], v[94:95], v[160:161], -v[190:191]
	v_mul_f64 v[190:191], v[72:73], v[162:163]
	v_mul_f64 v[162:163], v[32:33], v[162:163]
	v_fma_f64 v[102:103], v[50:51], v[168:169], v[206:207]
	v_fma_f64 v[94:95], v[48:49], v[164:165], v[22:23]
	v_mul_f64 v[48:49], v[74:75], v[166:167]
	v_mul_f64 v[50:51], v[34:35], v[166:167]
	v_fma_f64 v[22:23], v[78:79], v[16:17], -v[184:185]
	v_fma_f64 v[86:87], v[88:89], v[164:165], -v[208:209]
	v_mul_f64 v[166:167], v[68:69], v[170:171]
	v_fma_f64 v[84:85], v[90:91], v[168:169], -v[36:37]
	v_mul_f64 v[170:171], v[28:29], v[170:171]
	v_add_f64 v[184:185], v[140:141], -v[62:63]
	v_fma_f64 v[150:151], v[148:149], v[12:13], v[150:151]
	v_fma_f64 v[88:89], v[44:45], v[172:173], v[152:153]
	;; [unrolled: 1-line block ×3, first 2 shown]
	v_mul_f64 v[46:47], v[70:71], v[174:175]
	v_mul_f64 v[152:153], v[30:31], v[174:175]
	v_fma_f64 v[80:81], v[80:81], v[172:173], -v[154:155]
	v_mul_f64 v[154:155], v[64:65], v[178:179]
	v_mul_f64 v[174:175], v[24:25], v[178:179]
	v_fma_f64 v[76:77], v[76:77], v[180:181], -v[156:157]
	v_mul_f64 v[156:157], v[66:67], v[182:183]
	v_fma_f64 v[148:149], v[42:43], v[16:17], v[158:159]
	v_mul_f64 v[178:179], v[26:27], v[182:183]
	v_fma_f64 v[44:45], v[32:33], v[160:161], v[190:191]
	v_fma_f64 v[36:37], v[72:73], v[160:161], -v[162:163]
	v_fma_f64 v[78:79], v[82:83], v[176:177], -v[188:189]
	v_fma_f64 v[82:83], v[40:41], v[180:181], v[210:211]
	v_add_f64 v[158:159], v[2:3], -v[22:23]
	v_fma_f64 v[40:41], v[34:35], v[164:165], v[48:49]
	v_fma_f64 v[34:35], v[74:75], v[164:165], -v[50:51]
	v_fma_f64 v[42:43], v[28:29], v[168:169], v[166:167]
	v_fma_f64 v[32:33], v[68:69], v[168:169], -v[170:171]
	v_mul_f64 v[68:69], v[184:185], s[6:7]
	v_add_f64 v[72:73], v[138:139], v[150:151]
	v_mul_f64 v[160:161], v[184:185], s[14:15]
	v_mul_f64 v[74:75], v[184:185], s[8:9]
	v_fma_f64 v[46:47], v[30:31], v[172:173], v[46:47]
	v_fma_f64 v[30:31], v[70:71], v[172:173], -v[152:153]
	v_mul_f64 v[70:71], v[184:185], s[16:17]
	v_fma_f64 v[48:49], v[24:25], v[176:177], v[154:155]
	v_mul_f64 v[24:25], v[184:185], s[18:19]
	v_fma_f64 v[28:29], v[64:65], v[176:177], -v[174:175]
	v_mul_f64 v[64:65], v[184:185], s[24:25]
	v_fma_f64 v[50:51], v[26:27], v[180:181], v[156:157]
	v_add_f64 v[154:155], v[146:147], v[148:149]
	v_fma_f64 v[26:27], v[66:67], v[180:181], -v[178:179]
	v_add_f64 v[152:153], v[98:99], -v[76:77]
	v_add_f64 v[182:183], v[20:21], v[138:139]
	v_add_f64 v[212:213], v[144:145], v[82:83]
	v_mul_f64 v[66:67], v[158:159], s[16:17]
	v_mul_f64 v[162:163], v[158:159], s[24:25]
	;; [unrolled: 1-line block ×6, first 2 shown]
	v_fma_f64 v[170:171], v[72:73], s[22:23], v[68:69]
	v_fma_f64 v[68:69], v[72:73], s[22:23], -v[68:69]
	v_fma_f64 v[172:173], v[72:73], s[30:31], v[160:161]
	v_fma_f64 v[168:169], v[72:73], s[20:21], v[74:75]
	v_fma_f64 v[74:75], v[72:73], s[20:21], -v[74:75]
	v_fma_f64 v[174:175], v[72:73], s[34:35], v[70:71]
	v_fma_f64 v[160:161], v[72:73], s[30:31], -v[160:161]
	v_fma_f64 v[70:71], v[72:73], s[34:35], -v[70:71]
	v_fma_f64 v[176:177], v[72:73], s[36:37], v[24:25]
	v_fma_f64 v[24:25], v[72:73], s[36:37], -v[24:25]
	v_fma_f64 v[178:179], v[72:73], s[42:43], v[64:65]
	v_fma_f64 v[64:65], v[72:73], s[42:43], -v[64:65]
	v_mul_f64 v[72:73], v[152:153], s[14:15]
	v_mul_f64 v[180:181], v[152:153], s[24:25]
	v_mul_f64 v[208:209], v[152:153], s[38:39]
	v_fma_f64 v[186:187], v[154:155], s[34:35], v[66:67]
	v_fma_f64 v[66:67], v[154:155], s[34:35], -v[66:67]
	v_fma_f64 v[188:189], v[154:155], s[42:43], v[162:163]
	v_fma_f64 v[190:191], v[154:155], s[36:37], v[164:165]
	;; [unrolled: 1-line block ×3, first 2 shown]
	v_fma_f64 v[164:165], v[154:155], s[36:37], -v[164:165]
	v_add_f64 v[170:171], v[20:21], v[170:171]
	v_add_f64 v[68:69], v[20:21], v[68:69]
	;; [unrolled: 1-line block ×12, first 2 shown]
	v_fma_f64 v[64:65], v[154:155], s[30:31], v[166:167]
	v_fma_f64 v[166:167], v[154:155], s[30:31], -v[166:167]
	v_fma_f64 v[206:207], v[154:155], s[20:21], v[158:159]
	v_fma_f64 v[156:157], v[154:155], s[22:23], -v[156:157]
	v_fma_f64 v[162:163], v[154:155], s[42:43], -v[162:163]
	;; [unrolled: 1-line block ×3, first 2 shown]
	v_mul_f64 v[158:159], v[152:153], s[40:41]
	v_mul_f64 v[210:211], v[152:153], s[6:7]
	;; [unrolled: 1-line block ×3, first 2 shown]
	v_fma_f64 v[214:215], v[212:213], s[30:31], v[72:73]
	v_fma_f64 v[216:217], v[212:213], s[42:43], v[180:181]
	v_add_f64 v[66:67], v[66:67], v[68:69]
	v_add_f64 v[68:69], v[188:189], v[172:173]
	v_fma_f64 v[180:181], v[212:213], s[42:43], -v[180:181]
	v_fma_f64 v[220:221], v[212:213], s[20:21], v[208:209]
	v_add_f64 v[172:173], v[190:191], v[174:175]
	v_add_f64 v[174:175], v[96:97], -v[78:79]
	v_fma_f64 v[208:209], v[212:213], s[20:21], -v[208:209]
	v_add_f64 v[168:169], v[184:185], v[168:169]
	v_add_f64 v[170:171], v[186:187], v[170:171]
	;; [unrolled: 1-line block ×4, first 2 shown]
	v_fma_f64 v[72:73], v[212:213], s[30:31], -v[72:73]
	v_add_f64 v[24:25], v[166:167], v[24:25]
	v_add_f64 v[164:165], v[206:207], v[178:179]
	v_add_f64 v[166:167], v[92:93], -v[80:81]
	v_add_f64 v[74:75], v[156:157], v[74:75]
	v_add_f64 v[156:157], v[162:163], v[160:161]
	v_fma_f64 v[218:219], v[212:213], s[34:35], v[158:159]
	v_fma_f64 v[158:159], v[212:213], s[34:35], -v[158:159]
	v_fma_f64 v[222:223], v[212:213], s[22:23], v[210:211]
	v_fma_f64 v[210:211], v[212:213], s[22:23], -v[210:211]
	v_fma_f64 v[224:225], v[212:213], s[36:37], v[152:153]
	v_fma_f64 v[152:153], v[212:213], s[36:37], -v[152:153]
	v_add_f64 v[20:21], v[154:155], v[20:21]
	v_add_f64 v[66:67], v[180:181], v[66:67]
	;; [unrolled: 1-line block ×4, first 2 shown]
	v_mul_f64 v[178:179], v[174:175], s[26:27]
	v_mul_f64 v[184:185], v[174:175], s[38:39]
	v_add_f64 v[154:155], v[214:215], v[168:169]
	v_add_f64 v[160:161], v[216:217], v[170:171]
	v_add_f64 v[70:71], v[208:209], v[70:71]
	v_add_f64 v[208:209], v[136:137], v[88:89]
	v_mul_f64 v[176:177], v[174:175], s[16:17]
	v_mul_f64 v[186:187], v[174:175], s[14:15]
	;; [unrolled: 1-line block ×7, first 2 shown]
	v_add_f64 v[68:69], v[218:219], v[68:69]
	v_mul_f64 v[180:181], v[166:167], s[46:47]
	v_add_f64 v[210:211], v[210:211], v[24:25]
	v_add_f64 v[164:165], v[224:225], v[164:165]
	;; [unrolled: 1-line block ×3, first 2 shown]
	v_add_f64 v[20:21], v[86:87], -v[84:85]
	v_add_f64 v[64:65], v[222:223], v[64:65]
	v_fma_f64 v[212:213], v[190:191], s[36:37], v[178:179]
	v_fma_f64 v[178:179], v[190:191], s[36:37], -v[178:179]
	v_fma_f64 v[226:227], v[190:191], s[20:21], v[184:185]
	v_fma_f64 v[184:185], v[190:191], s[20:21], -v[184:185]
	;; [unrolled: 2-line block ×3, first 2 shown]
	v_fma_f64 v[228:229], v[190:191], s[30:31], v[186:187]
	v_fma_f64 v[214:215], v[208:209], s[36:37], v[168:169]
	v_fma_f64 v[216:217], v[208:209], s[36:37], -v[168:169]
	v_fma_f64 v[168:169], v[208:209], s[30:31], v[170:171]
	v_fma_f64 v[170:171], v[208:209], s[30:31], -v[170:171]
	v_fma_f64 v[186:187], v[190:191], s[30:31], -v[186:187]
	v_fma_f64 v[230:231], v[190:191], s[42:43], v[188:189]
	v_fma_f64 v[188:189], v[190:191], s[42:43], -v[188:189]
	v_fma_f64 v[232:233], v[190:191], s[22:23], v[174:175]
	v_fma_f64 v[174:175], v[190:191], s[22:23], -v[174:175]
	v_mul_f64 v[190:191], v[166:167], s[38:39]
	v_mul_f64 v[166:167], v[166:167], s[16:17]
	v_fma_f64 v[218:219], v[208:209], s[22:23], v[172:173]
	v_fma_f64 v[220:221], v[208:209], s[22:23], -v[172:173]
	v_add_f64 v[172:173], v[158:159], v[156:157]
	v_add_f64 v[66:67], v[178:179], v[66:67]
	;; [unrolled: 1-line block ×3, first 2 shown]
	v_fma_f64 v[222:223], v[208:209], s[42:43], v[180:181]
	v_fma_f64 v[180:181], v[208:209], s[42:43], -v[180:181]
	v_mul_f64 v[24:25], v[20:21], s[24:25]
	v_mul_f64 v[156:157], v[20:21], s[18:19]
	;; [unrolled: 1-line block ×3, first 2 shown]
	v_add_f64 v[178:179], v[228:229], v[162:163]
	v_mul_f64 v[162:163], v[20:21], s[16:17]
	v_add_f64 v[228:229], v[94:95], v[102:103]
	v_add_f64 v[206:207], v[206:207], v[154:155]
	;; [unrolled: 1-line block ×6, first 2 shown]
	v_mul_f64 v[164:165], v[20:21], s[28:29]
	v_fma_f64 v[224:225], v[208:209], s[20:21], v[190:191]
	v_fma_f64 v[190:191], v[208:209], s[20:21], -v[190:191]
	v_fma_f64 v[234:235], v[208:209], s[34:35], v[166:167]
	v_fma_f64 v[208:209], v[208:209], s[34:35], -v[166:167]
	v_add_f64 v[166:167], v[72:73], v[74:75]
	v_add_f64 v[170:171], v[170:171], v[66:67]
	;; [unrolled: 1-line block ×3, first 2 shown]
	v_mul_f64 v[72:73], v[20:21], s[38:39]
	v_add_f64 v[230:231], v[184:185], v[172:173]
	v_add_f64 v[184:185], v[188:189], v[210:211]
	;; [unrolled: 1-line block ×5, first 2 shown]
	v_fma_f64 v[64:65], v[228:229], s[42:43], v[24:25]
	v_fma_f64 v[20:21], v[228:229], s[42:43], -v[24:25]
	v_fma_f64 v[154:155], v[228:229], s[36:37], v[156:157]
	v_fma_f64 v[24:25], v[228:229], s[36:37], -v[156:157]
	;; [unrolled: 2-line block ×3, first 2 shown]
	v_fma_f64 v[160:161], v[228:229], s[34:35], v[162:163]
	v_add_f64 v[168:169], v[168:169], v[212:213]
	v_add_f64 v[178:179], v[224:225], v[186:187]
	;; [unrolled: 1-line block ×3, first 2 shown]
	v_fma_f64 v[74:75], v[228:229], s[20:21], v[72:73]
	v_fma_f64 v[152:153], v[228:229], s[20:21], -v[72:73]
	v_fma_f64 v[72:73], v[228:229], s[34:35], -v[162:163]
	v_fma_f64 v[162:163], v[228:229], s[30:31], v[164:165]
	v_fma_f64 v[164:165], v[228:229], s[30:31], -v[164:165]
	v_add_f64 v[228:229], v[176:177], v[166:167]
	v_add_f64 v[166:167], v[214:215], v[206:207]
	;; [unrolled: 1-line block ×4, first 2 shown]
	v_mul_f64 v[70:71], v[4:5], v[18:19]
	v_mul_f64 v[190:191], v[10:11], v[14:15]
	;; [unrolled: 1-line block ×3, first 2 shown]
	v_add_f64 v[180:181], v[234:235], v[226:227]
	v_add_f64 v[182:183], v[208:209], v[188:189]
	;; [unrolled: 1-line block ×5, first 2 shown]
	v_sub_nc_u32_e32 v185, 0, v197
	v_sub_nc_u32_e32 v184, 0, v198
	v_add_f64 v[24:25], v[24:25], v[186:187]
	v_add_f64 v[66:67], v[66:67], v[136:137]
	;; [unrolled: 1-line block ×7, first 2 shown]
	v_mul_f64 v[66:67], v[8:9], v[18:19]
	v_add_f64 v[18:19], v[216:217], v[228:229]
	v_add_f64 v[188:189], v[68:69], v[148:149]
	v_lshrrev_b32_e32 v68, 2, v104
	v_add_f64 v[18:19], v[20:21], v[18:19]
	v_mul_u32_u24_e32 v206, 52, v68
	v_fma_f64 v[68:69], v[4:5], v[16:17], v[66:67]
	v_fma_f64 v[66:67], v[8:9], v[16:17], -v[70:71]
	v_fma_f64 v[70:71], v[6:7], v[12:13], v[190:191]
	v_add_f64 v[4:5], v[64:65], v[166:167]
	v_add_f64 v[6:7], v[74:75], v[168:169]
	;; [unrolled: 1-line block ×3, first 2 shown]
	v_fma_f64 v[64:65], v[10:11], v[12:13], -v[14:15]
	v_add_f64 v[74:75], v[156:157], v[174:175]
	v_add_f64 v[154:155], v[160:161], v[178:179]
	;; [unrolled: 1-line block ×6, first 2 shown]
	v_or_b32_e32 v10, v206, v196
	v_sub_nc_u32_e32 v183, 0, v199
	v_add_f64 v[160:161], v[188:189], v[150:151]
	v_sub_nc_u32_e32 v181, 0, v200
	v_sub_nc_u32_e32 v182, 0, v201
	;; [unrolled: 1-line block ×5, first 2 shown]
	v_lshl_add_u32 v177, v10, 3, 0
	v_lshrrev_b32_e32 v176, 2, v118
	ds_write2_b64 v177, v[6:7], v[16:17] offset0:8 offset1:12
	ds_write2_b64 v177, v[74:75], v[154:155] offset0:16 offset1:20
	ds_write2_b64 v177, v[156:157], v[158:159] offset0:24 offset1:28
	ds_write2_b64 v177, v[72:73], v[152:153] offset0:32 offset1:36
	ds_write2_b64 v177, v[24:25], v[8:9] offset0:40 offset1:44
	ds_write2_b64 v177, v[160:161], v[4:5] offset1:4
	ds_write_b64 v177, v[18:19] offset:384
	s_and_saveexec_b32 s1, s0
	s_cbranch_execz .LBB0_19
; %bb.18:
	v_add_f64 v[6:7], v[100:101], -v[64:65]
	v_add_f64 v[4:5], v[134:135], v[70:71]
	v_add_f64 v[10:11], v[58:59], -v[66:67]
	v_add_f64 v[18:19], v[52:53], -v[26:27]
	v_mul_f64 v[152:153], v[6:7], s[14:15]
	v_mul_f64 v[156:157], v[6:7], s[6:7]
	;; [unrolled: 1-line block ×7, first 2 shown]
	v_fma_f64 v[8:9], v[4:5], s[30:31], v[152:153]
	v_fma_f64 v[152:153], v[4:5], s[30:31], -v[152:153]
	v_add_f64 v[12:13], v[132:133], v[8:9]
	v_add_f64 v[8:9], v[56:57], v[68:69]
	;; [unrolled: 1-line block ×3, first 2 shown]
	v_fma_f64 v[14:15], v[8:9], s[42:43], v[154:155]
	v_fma_f64 v[16:17], v[8:9], s[34:35], v[158:159]
	;; [unrolled: 1-line block ×3, first 2 shown]
	v_fma_f64 v[154:155], v[8:9], s[42:43], -v[154:155]
	v_add_f64 v[12:13], v[14:15], v[12:13]
	v_fma_f64 v[14:15], v[4:5], s[22:23], v[156:157]
	v_add_f64 v[152:153], v[154:155], v[152:153]
	v_fma_f64 v[154:155], v[4:5], s[22:23], -v[156:157]
	v_fma_f64 v[156:157], v[8:9], s[34:35], -v[158:159]
	v_add_f64 v[14:15], v[132:133], v[14:15]
	v_add_f64 v[154:155], v[132:133], v[154:155]
	v_add_f64 v[16:17], v[16:17], v[14:15]
	v_add_f64 v[14:15], v[60:61], v[50:51]
	v_add_f64 v[154:155], v[156:157], v[154:155]
	v_fma_f64 v[20:21], v[14:15], s[34:35], v[160:161]
	v_fma_f64 v[156:157], v[14:15], s[34:35], -v[160:161]
	v_add_f64 v[20:21], v[20:21], v[12:13]
	v_fma_f64 v[12:13], v[14:15], s[42:43], v[162:163]
	v_add_f64 v[152:153], v[156:157], v[152:153]
	v_fma_f64 v[156:157], v[14:15], s[42:43], -v[162:163]
	v_add_f64 v[24:25], v[12:13], v[16:17]
	v_add_f64 v[16:17], v[38:39], -v[28:29]
	v_add_f64 v[12:13], v[54:55], v[48:49]
	v_add_f64 v[154:155], v[156:157], v[154:155]
	v_mul_f64 v[164:165], v[16:17], s[38:39]
	v_mul_f64 v[166:167], v[16:17], s[26:27]
	v_fma_f64 v[72:73], v[12:13], s[20:21], v[164:165]
	v_fma_f64 v[156:157], v[12:13], s[20:21], -v[164:165]
	v_add_f64 v[72:73], v[72:73], v[20:21]
	v_fma_f64 v[20:21], v[12:13], s[36:37], v[166:167]
	v_add_f64 v[152:153], v[156:157], v[152:153]
	v_fma_f64 v[156:157], v[12:13], s[36:37], -v[166:167]
	v_add_f64 v[74:75], v[20:21], v[24:25]
	v_add_f64 v[24:25], v[36:37], -v[30:31]
	v_add_f64 v[20:21], v[44:45], v[46:47]
	v_add_f64 v[154:155], v[156:157], v[154:155]
	v_mul_f64 v[168:169], v[24:25], s[6:7]
	v_fma_f64 v[170:171], v[20:21], s[22:23], v[168:169]
	v_fma_f64 v[156:157], v[20:21], s[22:23], -v[168:169]
	v_add_f64 v[174:175], v[170:171], v[72:73]
	v_mul_f64 v[170:171], v[24:25], s[28:29]
	v_add_f64 v[152:153], v[156:157], v[152:153]
	v_fma_f64 v[72:73], v[20:21], s[30:31], v[170:171]
	v_fma_f64 v[156:157], v[20:21], s[30:31], -v[170:171]
	v_add_f64 v[186:187], v[72:73], v[74:75]
	v_add_f64 v[74:75], v[34:35], -v[32:33]
	v_add_f64 v[72:73], v[40:41], v[42:43]
	v_add_f64 v[154:155], v[156:157], v[154:155]
	v_mul_f64 v[172:173], v[74:75], s[18:19]
	v_fma_f64 v[188:189], v[72:73], s[36:37], v[172:173]
	v_fma_f64 v[156:157], v[72:73], s[36:37], -v[172:173]
	v_add_f64 v[188:189], v[188:189], v[174:175]
	v_mul_f64 v[174:175], v[74:75], s[38:39]
	v_add_f64 v[152:153], v[156:157], v[152:153]
	v_fma_f64 v[190:191], v[72:73], s[20:21], v[174:175]
	v_fma_f64 v[156:157], v[72:73], s[20:21], -v[174:175]
	v_add_f64 v[186:187], v[190:191], v[186:187]
	v_mul_lo_u32 v190, v176, 52
	v_add_f64 v[154:155], v[156:157], v[154:155]
	v_or_b32_e32 v190, v190, v196
	v_lshl_add_u32 v224, v190, 3, 0
	v_mul_f64 v[190:191], v[10:11], s[28:29]
	ds_write2_b64 v224, v[186:187], v[188:189] offset0:8 offset1:12
	v_mul_f64 v[186:187], v[6:7], s[18:19]
	ds_write2_b64 v224, v[152:153], v[154:155] offset0:40 offset1:44
	v_fma_f64 v[197:198], v[8:9], s[30:31], v[190:191]
	v_fma_f64 v[188:189], v[4:5], s[36:37], v[186:187]
	v_fma_f64 v[186:187], v[4:5], s[36:37], -v[186:187]
	v_add_f64 v[188:189], v[132:133], v[188:189]
	v_add_f64 v[186:187], v[132:133], v[186:187]
	v_add_f64 v[188:189], v[197:198], v[188:189]
	v_mul_f64 v[197:198], v[6:7], s[16:17]
	v_fma_f64 v[199:200], v[4:5], s[34:35], v[197:198]
	v_add_f64 v[199:200], v[132:133], v[199:200]
	v_add_f64 v[199:200], v[203:204], v[199:200]
	v_mul_f64 v[203:204], v[18:19], s[6:7]
	v_fma_f64 v[206:207], v[14:15], s[22:23], v[203:204]
	v_add_f64 v[188:189], v[206:207], v[188:189]
	v_mul_f64 v[206:207], v[18:19], s[38:39]
	v_fma_f64 v[208:209], v[14:15], s[20:21], v[206:207]
	;; [unrolled: 3-line block ×8, first 2 shown]
	v_add_f64 v[199:200], v[220:221], v[199:200]
	v_mul_f64 v[220:221], v[10:11], s[38:39]
	ds_write2_b64 v224, v[199:200], v[188:189] offset0:16 offset1:20
	v_mul_f64 v[188:189], v[6:7], s[24:25]
	v_fma_f64 v[222:223], v[8:9], s[20:21], -v[220:221]
	v_fma_f64 v[220:221], v[8:9], s[20:21], v[220:221]
	v_mul_f64 v[6:7], v[6:7], s[8:9]
	v_fma_f64 v[199:200], v[4:5], s[42:43], -v[188:189]
	v_fma_f64 v[188:189], v[4:5], s[42:43], v[188:189]
	v_fma_f64 v[152:153], v[4:5], s[20:21], v[6:7]
	v_add_f64 v[199:200], v[132:133], v[199:200]
	v_add_f64 v[188:189], v[132:133], v[188:189]
	;; [unrolled: 1-line block ×4, first 2 shown]
	v_mul_f64 v[220:221], v[18:19], s[18:19]
	v_fma_f64 v[222:223], v[14:15], s[36:37], -v[220:221]
	v_fma_f64 v[220:221], v[14:15], s[36:37], v[220:221]
	v_add_f64 v[199:200], v[222:223], v[199:200]
	v_add_f64 v[188:189], v[220:221], v[188:189]
	v_mul_f64 v[220:221], v[16:17], s[44:45]
	v_fma_f64 v[222:223], v[12:13], s[22:23], -v[220:221]
	v_fma_f64 v[220:221], v[12:13], s[22:23], v[220:221]
	v_add_f64 v[199:200], v[222:223], v[199:200]
	v_add_f64 v[188:189], v[220:221], v[188:189]
	;; [unrolled: 5-line block ×4, first 2 shown]
	ds_write2_b64 v224, v[188:189], v[199:200] offset0:24 offset1:28
	v_fma_f64 v[188:189], v[8:9], s[30:31], -v[190:191]
	v_fma_f64 v[190:191], v[8:9], s[36:37], -v[201:202]
	v_add_f64 v[186:187], v[188:189], v[186:187]
	v_fma_f64 v[188:189], v[4:5], s[34:35], -v[197:198]
	v_fma_f64 v[4:5], v[4:5], s[20:21], -v[6:7]
	v_mul_f64 v[6:7], v[10:11], s[6:7]
	v_add_f64 v[188:189], v[132:133], v[188:189]
	v_add_f64 v[4:5], v[132:133], v[4:5]
	v_fma_f64 v[10:11], v[8:9], s[22:23], v[6:7]
	v_fma_f64 v[6:7], v[8:9], s[22:23], -v[6:7]
	v_mul_f64 v[8:9], v[18:19], s[14:15]
	v_add_f64 v[188:189], v[190:191], v[188:189]
	v_fma_f64 v[190:191], v[14:15], s[22:23], -v[203:204]
	v_add_f64 v[4:5], v[6:7], v[4:5]
	v_fma_f64 v[18:19], v[14:15], s[30:31], v[8:9]
	v_fma_f64 v[8:9], v[14:15], s[30:31], -v[8:9]
	v_add_f64 v[186:187], v[190:191], v[186:187]
	v_fma_f64 v[190:191], v[14:15], s[20:21], -v[206:207]
	v_add_f64 v[14:15], v[132:133], v[152:153]
	v_add_f64 v[4:5], v[8:9], v[4:5]
	v_mul_f64 v[8:9], v[24:25], s[18:19]
	v_add_f64 v[188:189], v[190:191], v[188:189]
	v_add_f64 v[10:11], v[10:11], v[14:15]
	v_fma_f64 v[190:191], v[12:13], s[42:43], -v[208:209]
	v_add_f64 v[6:7], v[18:19], v[10:11]
	v_mul_f64 v[10:11], v[16:17], s[16:17]
	v_add_f64 v[186:187], v[190:191], v[186:187]
	v_fma_f64 v[190:191], v[12:13], s[30:31], -v[210:211]
	v_fma_f64 v[14:15], v[12:13], s[34:35], v[10:11]
	v_fma_f64 v[10:11], v[12:13], s[34:35], -v[10:11]
	v_fma_f64 v[12:13], v[20:21], s[36:37], v[8:9]
	v_fma_f64 v[8:9], v[20:21], s[36:37], -v[8:9]
	v_add_f64 v[188:189], v[190:191], v[188:189]
	v_fma_f64 v[190:191], v[20:21], s[20:21], -v[212:213]
	v_add_f64 v[6:7], v[14:15], v[6:7]
	v_add_f64 v[4:5], v[10:11], v[4:5]
	v_mul_f64 v[10:11], v[74:75], s[24:25]
	v_add_f64 v[186:187], v[190:191], v[186:187]
	v_fma_f64 v[190:191], v[20:21], s[42:43], -v[214:215]
	v_add_f64 v[6:7], v[12:13], v[6:7]
	v_add_f64 v[4:5], v[8:9], v[4:5]
	v_add_f64 v[8:9], v[132:133], v[134:135]
	v_fma_f64 v[12:13], v[72:73], s[42:43], v[10:11]
	v_fma_f64 v[10:11], v[72:73], s[42:43], -v[10:11]
	v_add_f64 v[188:189], v[190:191], v[188:189]
	v_fma_f64 v[190:191], v[72:73], s[34:35], -v[216:217]
	v_add_f64 v[8:9], v[8:9], v[56:57]
	v_add_f64 v[6:7], v[12:13], v[6:7]
	;; [unrolled: 1-line block ×4, first 2 shown]
	v_fma_f64 v[190:191], v[72:73], s[22:23], -v[218:219]
	v_add_f64 v[8:9], v[8:9], v[60:61]
	v_add_f64 v[188:189], v[190:191], v[188:189]
	;; [unrolled: 1-line block ×3, first 2 shown]
	ds_write2_b64 v224, v[186:187], v[188:189] offset0:32 offset1:36
	v_add_f64 v[8:9], v[8:9], v[44:45]
	v_add_f64 v[8:9], v[8:9], v[40:41]
	;; [unrolled: 1-line block ×8, first 2 shown]
	ds_write2_b64 v224, v[8:9], v[6:7] offset1:4
	ds_write_b64 v224, v[4:5] offset:384
.LBB0_19:
	s_or_b32 exec_lo, exec_lo, s1
	v_add_f64 v[4:5], v[0:1], v[140:141]
	v_add_f64 v[20:21], v[144:145], -v[82:83]
	v_add_f64 v[10:11], v[140:141], v[62:63]
	v_add_f64 v[12:13], v[138:139], -v[150:151]
	;; [unrolled: 2-line block ×3, first 2 shown]
	v_add_f64 v[18:19], v[98:99], v[76:77]
	v_add_f64 v[74:75], v[92:93], v[80:81]
	;; [unrolled: 1-line block ×3, first 2 shown]
	v_add_f64 v[72:73], v[142:143], -v[90:91]
	v_add_f64 v[90:91], v[86:87], v[84:85]
	v_add_f64 v[88:89], v[136:137], -v[88:89]
	v_add_f64 v[143:144], v[94:95], -v[102:103]
	v_add_nc_u32_e32 v103, v123, v183
	v_add_nc_u32_e32 v132, v121, v181
	;; [unrolled: 1-line block ×9, first 2 shown]
	v_add_f64 v[82:83], v[4:5], v[2:3]
	v_add_nc_u32_e32 v140, 0x1000, v192
	v_mul_f64 v[145:146], v[10:11], s[22:23]
	v_mul_f64 v[147:148], v[10:11], s[30:31]
	;; [unrolled: 1-line block ×20, first 2 shown]
	v_add_f64 v[82:83], v[82:83], v[98:99]
	v_mul_f64 v[98:99], v[10:11], s[20:21]
	v_mul_f64 v[10:11], v[10:11], s[42:43]
	v_fma_f64 v[211:212], v[12:13], s[44:45], v[145:146]
	v_fma_f64 v[145:146], v[12:13], s[6:7], v[145:146]
	v_fma_f64 v[213:214], v[12:13], s[28:29], v[147:148]
	v_fma_f64 v[147:148], v[12:13], s[14:15], v[147:148]
	v_fma_f64 v[215:216], v[12:13], s[26:27], v[151:152]
	v_fma_f64 v[151:152], v[12:13], s[18:19], v[151:152]
	v_fma_f64 v[219:220], v[16:17], s[40:41], v[155:156]
	v_fma_f64 v[155:156], v[16:17], s[16:17], v[155:156]
	v_fma_f64 v[221:222], v[16:17], s[46:47], v[157:158]
	v_fma_f64 v[157:158], v[16:17], s[24:25], v[157:158]
	v_fma_f64 v[223:224], v[16:17], s[18:19], v[159:160]
	v_fma_f64 v[159:160], v[16:17], s[26:27], v[159:160]
	v_fma_f64 v[225:226], v[16:17], s[14:15], v[161:162]
	v_fma_f64 v[161:162], v[16:17], s[28:29], v[161:162]
	v_fma_f64 v[227:228], v[16:17], s[8:9], v[14:15]
	v_fma_f64 v[14:15], v[16:17], s[38:39], v[14:15]
	v_fma_f64 v[229:230], v[20:21], s[46:47], v[165:166]
	v_fma_f64 v[231:232], v[20:21], s[8:9], v[169:170]
	v_fma_f64 v[169:170], v[20:21], s[38:39], v[169:170]
	v_add_f64 v[82:83], v[82:83], v[96:97]
	v_fma_f64 v[209:210], v[12:13], s[38:39], v[98:99]
	v_fma_f64 v[98:99], v[12:13], s[8:9], v[98:99]
	;; [unrolled: 1-line block ×8, first 2 shown]
	v_add_f64 v[145:146], v[0:1], v[145:146]
	v_add_f64 v[147:148], v[0:1], v[147:148]
	;; [unrolled: 1-line block ×3, first 2 shown]
	v_mul_f64 v[96:97], v[24:25], s[30:31]
	v_mul_f64 v[24:25], v[24:25], s[22:23]
	;; [unrolled: 1-line block ×8, first 2 shown]
	v_fma_f64 v[239:240], v[72:73], s[24:25], v[182:183]
	v_mul_f64 v[199:200], v[90:91], s[42:43]
	v_add_f64 v[82:83], v[82:83], v[92:93]
	v_fma_f64 v[92:93], v[12:13], s[40:41], v[149:150]
	v_fma_f64 v[149:150], v[12:13], s[16:17], v[149:150]
	;; [unrolled: 1-line block ×6, first 2 shown]
	v_add_f64 v[98:99], v[0:1], v[98:99]
	v_mul_f64 v[201:202], v[90:91], s[20:21]
	v_add_f64 v[145:146], v[155:156], v[145:146]
	v_add_f64 v[147:148], v[157:158], v[147:148]
	;; [unrolled: 1-line block ×3, first 2 shown]
	v_fma_f64 v[237:238], v[72:73], s[28:29], v[96:97]
	v_fma_f64 v[96:97], v[72:73], s[14:15], v[96:97]
	v_mul_f64 v[203:204], v[90:91], s[36:37]
	v_mul_f64 v[205:206], v[90:91], s[22:23]
	;; [unrolled: 1-line block ×4, first 2 shown]
	v_fma_f64 v[161:162], v[88:89], s[14:15], v[186:187]
	v_add_nc_u32_e32 v142, 0x1400, v192
	v_add_nc_u32_e32 v139, 0x1800, v192
	s_waitcnt lgkmcnt(0)
	v_add_f64 v[82:83], v[82:83], v[86:87]
	v_fma_f64 v[86:87], v[20:21], s[24:25], v[165:166]
	v_fma_f64 v[165:166], v[20:21], s[16:17], v[167:168]
	;; [unrolled: 1-line block ×3, first 2 shown]
	v_add_f64 v[20:21], v[0:1], v[209:210]
	v_add_f64 v[209:210], v[0:1], v[211:212]
	;; [unrolled: 1-line block ×8, first 2 shown]
	v_fma_f64 v[217:218], v[72:73], s[8:9], v[180:181]
	v_fma_f64 v[180:181], v[72:73], s[38:39], v[180:181]
	v_add_f64 v[151:152], v[171:172], v[151:152]
	s_barrier
	v_fma_f64 v[171:172], v[143:144], s[16:17], v[207:208]
	buffer_gl0_inv
	v_add_nc_u32_e32 v141, 0x2000, v192
	ds_read2_b64 v[6:9], v140 offset0:112 offset1:164
	ds_read2_b64 v[2:5], v142 offset0:88 offset1:140
	v_add_f64 v[10:11], v[82:83], v[84:85]
	v_fma_f64 v[82:83], v[72:73], s[40:41], v[173:174]
	v_fma_f64 v[84:85], v[72:73], s[16:17], v[173:174]
	v_fma_f64 v[173:174], v[72:73], s[18:19], v[178:179]
	v_add_f64 v[12:13], v[12:13], v[20:21]
	v_add_f64 v[20:21], v[153:154], v[98:99]
	;; [unrolled: 1-line block ×9, first 2 shown]
	v_fma_f64 v[178:179], v[72:73], s[26:27], v[178:179]
	v_fma_f64 v[14:15], v[72:73], s[46:47], v[182:183]
	v_add_f64 v[86:87], v[86:87], v[145:146]
	v_add_f64 v[145:146], v[167:168], v[147:148]
	v_fma_f64 v[159:160], v[88:89], s[18:19], v[184:185]
	v_fma_f64 v[182:183], v[88:89], s[28:29], v[186:187]
	;; [unrolled: 1-line block ×4, first 2 shown]
	v_add_f64 v[10:11], v[10:11], v[80:81]
	v_fma_f64 v[80:81], v[72:73], s[6:7], v[24:25]
	v_fma_f64 v[24:25], v[72:73], s[44:45], v[24:25]
	;; [unrolled: 1-line block ×3, first 2 shown]
	v_add_f64 v[12:13], v[16:17], v[12:13]
	v_add_f64 v[16:17], v[163:164], v[20:21]
	;; [unrolled: 1-line block ×9, first 2 shown]
	v_fma_f64 v[184:185], v[88:89], s[44:45], v[188:189]
	v_fma_f64 v[18:19], v[88:89], s[24:25], v[190:191]
	;; [unrolled: 1-line block ×6, first 2 shown]
	v_add_f64 v[14:15], v[14:15], v[151:152]
	v_fma_f64 v[165:166], v[143:144], s[24:25], v[199:200]
	v_fma_f64 v[151:152], v[143:144], s[6:7], v[205:206]
	v_add_f64 v[10:11], v[10:11], v[78:79]
	v_fma_f64 v[78:79], v[88:89], s[46:47], v[190:191]
	v_fma_f64 v[88:89], v[143:144], s[46:47], v[199:200]
	;; [unrolled: 1-line block ×3, first 2 shown]
	v_add_f64 v[12:13], v[82:83], v[12:13]
	v_add_f64 v[16:17], v[84:85], v[16:17]
	;; [unrolled: 1-line block ×11, first 2 shown]
	v_fma_f64 v[145:146], v[143:144], s[38:39], v[201:202]
	v_fma_f64 v[147:148], v[143:144], s[26:27], v[203:204]
	;; [unrolled: 1-line block ×6, first 2 shown]
	v_add_f64 v[10:11], v[10:11], v[76:77]
	v_add_f64 v[143:144], v[72:73], v[12:13]
	;; [unrolled: 1-line block ×14, first 2 shown]
	ds_read_b64 v[76:77], v192
	ds_read_b64 v[74:75], v193
	;; [unrolled: 1-line block ×4, first 2 shown]
	ds_read2_b64 v[14:17], v139 offset0:64 offset1:116
	ds_read2_b64 v[10:13], v139 offset0:168 offset1:220
	ds_read_b64 v[78:79], v95
	ds_read_b64 v[80:81], v102
	;; [unrolled: 1-line block ×4, first 2 shown]
	ds_read2_b64 v[22:25], v141 offset0:16 offset1:68
	ds_read2_b64 v[18:21], v141 offset0:120 offset1:172
	v_add_f64 v[143:144], v[88:89], v[143:144]
	v_add_f64 v[159:160], v[165:166], v[159:160]
	;; [unrolled: 1-line block ×13, first 2 shown]
	ds_read_b64 v[62:63], v133
	ds_read_b64 v[86:87], v136
	;; [unrolled: 1-line block ×4, first 2 shown]
	s_waitcnt lgkmcnt(0)
	s_barrier
	buffer_gl0_inv
	ds_write2_b64 v177, v[161:162], v[147:148] offset0:8 offset1:12
	ds_write2_b64 v177, v[92:93], v[98:99] offset0:16 offset1:20
	;; [unrolled: 1-line block ×5, first 2 shown]
	ds_write2_b64 v177, v[157:158], v[143:144] offset1:4
	ds_write_b64 v177, v[159:160] offset:384
	s_and_saveexec_b32 s33, s0
	s_cbranch_execz .LBB0_21
; %bb.20:
	v_add_f64 v[92:93], v[130:131], v[100:101]
	v_add_f64 v[40:41], v[40:41], -v[42:43]
	v_add_f64 v[96:97], v[100:101], v[64:65]
	v_add_f64 v[50:51], v[60:61], -v[50:51]
	v_add_f64 v[60:61], v[38:39], v[28:29]
	s_mov_b32 s36, 0xe00740e9
	s_mov_b32 s38, 0x1ea71119
	s_mov_b32 s20, 0xebaa3ed8
	s_mov_b32 s37, 0x3fec55a7
	s_mov_b32 s39, 0x3fe22d96
	s_mov_b32 s21, 0x3fbedb7d
	s_mov_b32 s40, 0xb2365da1
	s_mov_b32 s42, 0xd0032e0c
	s_mov_b32 s41, 0xbfd6b1d8
	s_mov_b32 s43, 0xbfe7f3cc
	s_mov_b32 s44, 0x93053d00
	v_add_f64 v[70:71], v[134:135], -v[70:71]
	s_mov_b32 s45, 0xbfef11f4
	v_add_f64 v[56:57], v[56:57], -v[68:69]
	v_add_f64 v[68:69], v[52:53], v[26:27]
	v_add_f64 v[48:49], v[54:55], -v[48:49]
	v_add_f64 v[54:55], v[36:37], v[30:31]
	v_add_f64 v[92:93], v[92:93], v[58:59]
	;; [unrolled: 1-line block ×3, first 2 shown]
	v_mul_f64 v[98:99], v[96:97], s[20:21]
	v_mul_f64 v[100:101], v[96:97], s[40:41]
	;; [unrolled: 1-line block ×3, first 2 shown]
	s_mov_b32 s0, 0x4267c47c
	s_mov_b32 s8, 0x42a4c3d2
	;; [unrolled: 1-line block ×17, first 2 shown]
	v_add_f64 v[42:43], v[92:93], v[52:53]
	v_mul_f64 v[52:53], v[96:97], s[36:37]
	v_mul_f64 v[92:93], v[96:97], s[38:39]
	;; [unrolled: 1-line block ×3, first 2 shown]
	s_mov_b32 s18, s14
	s_mov_b32 s22, s24
	;; [unrolled: 1-line block ×7, first 2 shown]
	v_mul_f64 v[143:144], v[58:59], s[38:39]
	v_mul_f64 v[145:146], v[58:59], s[40:41]
	;; [unrolled: 1-line block ×3, first 2 shown]
	v_fma_f64 v[201:202], v[70:71], s[14:15], v[98:99]
	v_mul_f64 v[149:150], v[58:59], s[42:43]
	v_mul_f64 v[151:152], v[58:59], s[20:21]
	v_fma_f64 v[98:99], v[70:71], s[18:19], v[98:99]
	v_fma_f64 v[203:204], v[70:71], s[24:25], v[100:101]
	;; [unrolled: 1-line block ×4, first 2 shown]
	v_add_f64 v[44:45], v[44:45], -v[46:47]
	v_add_f64 v[38:39], v[42:43], v[38:39]
	v_fma_f64 v[199:200], v[70:71], s[0:1], v[52:53]
	v_add_f64 v[46:47], v[34:35], v[32:33]
	v_mul_f64 v[58:59], v[58:59], s[36:37]
	v_fma_f64 v[134:135], v[70:71], s[26:27], v[134:135]
	v_fma_f64 v[207:208], v[70:71], s[34:35], v[96:97]
	v_mul_f64 v[153:154], v[68:69], s[20:21]
	v_mul_f64 v[155:156], v[68:69], s[44:45]
	;; [unrolled: 1-line block ×6, first 2 shown]
	v_fma_f64 v[209:210], v[56:57], s[24:25], v[145:146]
	v_fma_f64 v[145:146], v[56:57], s[22:23], v[145:146]
	;; [unrolled: 1-line block ×3, first 2 shown]
	v_add_f64 v[201:202], v[130:131], v[201:202]
	v_fma_f64 v[147:148], v[56:57], s[30:31], v[147:148]
	v_fma_f64 v[213:214], v[56:57], s[26:27], v[149:150]
	;; [unrolled: 1-line block ×4, first 2 shown]
	v_add_f64 v[98:99], v[130:131], v[98:99]
	v_add_f64 v[203:204], v[130:131], v[203:204]
	;; [unrolled: 1-line block ×3, first 2 shown]
	v_fma_f64 v[38:39], v[70:71], s[6:7], v[52:53]
	v_fma_f64 v[52:53], v[70:71], s[8:9], v[92:93]
	;; [unrolled: 1-line block ×5, first 2 shown]
	v_add_f64 v[199:200], v[130:131], v[199:200]
	v_add_f64 v[100:101], v[130:131], v[100:101]
	;; [unrolled: 1-line block ×3, first 2 shown]
	v_fma_f64 v[143:144], v[56:57], s[16:17], v[143:144]
	v_fma_f64 v[151:152], v[56:57], s[14:15], v[151:152]
	v_add_f64 v[207:208], v[130:131], v[207:208]
	v_add_f64 v[134:135], v[130:131], v[134:135]
	v_mul_f64 v[161:162], v[60:61], s[40:41]
	v_mul_f64 v[163:164], v[60:61], s[42:43]
	;; [unrolled: 1-line block ×3, first 2 shown]
	v_fma_f64 v[217:218], v[50:51], s[34:35], v[155:156]
	v_fma_f64 v[155:156], v[50:51], s[30:31], v[155:156]
	;; [unrolled: 1-line block ×3, first 2 shown]
	v_mul_f64 v[167:168], v[60:61], s[20:21]
	v_mul_f64 v[169:170], v[60:61], s[44:45]
	v_fma_f64 v[221:222], v[50:51], s[6:7], v[42:43]
	v_add_f64 v[34:35], v[36:37], v[34:35]
	v_fma_f64 v[36:37], v[56:57], s[6:7], v[58:59]
	v_add_f64 v[52:53], v[130:131], v[52:53]
	v_add_f64 v[92:93], v[130:131], v[92:93]
	v_fma_f64 v[56:57], v[56:57], s[0:1], v[58:59]
	v_add_f64 v[70:71], v[130:131], v[70:71]
	;; [unrolled: 3-line block ×3, first 2 shown]
	v_add_f64 v[98:99], v[147:148], v[98:99]
	v_add_f64 v[147:148], v[213:214], v[203:204]
	;; [unrolled: 1-line block ×4, first 2 shown]
	v_mul_f64 v[60:61], v[60:61], s[38:39]
	v_fma_f64 v[153:154], v[50:51], s[18:19], v[153:154]
	v_fma_f64 v[157:158], v[50:51], s[24:25], v[157:158]
	;; [unrolled: 1-line block ×4, first 2 shown]
	v_add_f64 v[134:135], v[151:152], v[134:135]
	v_mul_f64 v[171:172], v[54:55], s[42:43]
	v_mul_f64 v[173:174], v[54:55], s[20:21]
	;; [unrolled: 1-line block ×3, first 2 shown]
	v_add_f64 v[32:33], v[34:35], v[32:33]
	v_fma_f64 v[34:35], v[50:51], s[8:9], v[159:160]
	v_add_f64 v[52:53], v[209:210], v[52:53]
	v_add_f64 v[92:93], v[145:146], v[92:93]
	;; [unrolled: 1-line block ×3, first 2 shown]
	v_fma_f64 v[159:160], v[50:51], s[16:17], v[159:160]
	v_fma_f64 v[50:51], v[50:51], s[26:27], v[68:69]
	v_add_f64 v[36:37], v[36:37], v[207:208]
	v_add_f64 v[56:57], v[56:57], v[70:71]
	;; [unrolled: 1-line block ×3, first 2 shown]
	v_fma_f64 v[68:69], v[48:49], s[24:25], v[161:162]
	v_fma_f64 v[130:131], v[48:49], s[22:23], v[161:162]
	;; [unrolled: 1-line block ×5, first 2 shown]
	v_add_f64 v[58:59], v[58:59], v[96:97]
	v_mul_f64 v[179:180], v[54:55], s[44:45]
	v_mul_f64 v[181:182], v[54:55], s[36:37]
	v_fma_f64 v[70:71], v[48:49], s[14:15], v[167:168]
	v_mul_f64 v[54:55], v[54:55], s[40:41]
	v_fma_f64 v[151:152], v[48:49], s[18:19], v[167:168]
	v_fma_f64 v[167:168], v[48:49], s[34:35], v[169:170]
	v_add_f64 v[30:31], v[32:33], v[30:31]
	v_fma_f64 v[32:33], v[48:49], s[0:1], v[165:166]
	v_add_f64 v[52:53], v[217:218], v[52:53]
	v_add_f64 v[92:93], v[155:156], v[92:93]
	;; [unrolled: 1-line block ×3, first 2 shown]
	v_fma_f64 v[165:166], v[48:49], s[30:31], v[169:170]
	v_add_f64 v[145:146], v[221:222], v[147:148]
	v_add_f64 v[34:35], v[34:35], v[149:150]
	v_fma_f64 v[143:144], v[48:49], s[16:17], v[60:61]
	v_fma_f64 v[48:49], v[48:49], s[8:9], v[60:61]
	v_add_f64 v[36:37], v[223:224], v[36:37]
	v_add_f64 v[50:51], v[50:51], v[56:57]
	;; [unrolled: 1-line block ×6, first 2 shown]
	v_mul_f64 v[183:184], v[46:47], s[44:45]
	v_mul_f64 v[185:186], v[46:47], s[36:37]
	;; [unrolled: 1-line block ×3, first 2 shown]
	v_fma_f64 v[60:61], v[44:45], s[28:29], v[171:172]
	v_fma_f64 v[169:170], v[44:45], s[18:19], v[173:174]
	;; [unrolled: 1-line block ×3, first 2 shown]
	v_add_f64 v[28:29], v[30:31], v[28:29]
	v_add_f64 v[58:59], v[68:69], v[58:59]
	;; [unrolled: 1-line block ×5, first 2 shown]
	v_mul_f64 v[189:190], v[46:47], s[38:39]
	v_mul_f64 v[197:198], v[46:47], s[40:41]
	v_fma_f64 v[147:148], v[44:45], s[30:31], v[179:180]
	v_fma_f64 v[153:154], v[44:45], s[6:7], v[181:182]
	v_add_f64 v[70:71], v[70:71], v[145:146]
	v_add_f64 v[34:35], v[165:166], v[34:35]
	v_fma_f64 v[157:158], v[44:45], s[24:25], v[54:55]
	v_fma_f64 v[54:55], v[44:45], s[22:23], v[54:55]
	v_add_f64 v[36:37], v[143:144], v[36:37]
	v_add_f64 v[48:49], v[48:49], v[50:51]
	v_fma_f64 v[30:31], v[44:45], s[14:15], v[173:174]
	v_fma_f64 v[149:150], v[44:45], s[34:35], v[179:180]
	;; [unrolled: 1-line block ×3, first 2 shown]
	v_add_f64 v[42:43], v[151:152], v[42:43]
	v_add_f64 v[96:97], v[167:168], v[100:101]
	v_fma_f64 v[134:135], v[44:45], s[16:17], v[177:178]
	v_add_f64 v[32:33], v[32:33], v[98:99]
	v_add_f64 v[26:27], v[28:29], v[26:27]
	v_mul_f64 v[28:29], v[46:47], s[20:21]
	v_fma_f64 v[44:45], v[44:45], s[26:27], v[171:172]
	v_add_f64 v[38:39], v[130:131], v[38:39]
	v_fma_f64 v[46:47], v[40:41], s[34:35], v[183:184]
	v_fma_f64 v[50:51], v[40:41], s[6:7], v[185:186]
	;; [unrolled: 1-line block ×3, first 2 shown]
	v_add_f64 v[58:59], v[60:61], v[58:59]
	v_add_f64 v[52:53], v[169:170], v[52:53]
	;; [unrolled: 1-line block ×3, first 2 shown]
	v_fma_f64 v[130:131], v[40:41], s[16:17], v[189:190]
	v_fma_f64 v[145:146], v[40:41], s[24:25], v[197:198]
	v_add_f64 v[60:61], v[147:148], v[70:71]
	v_add_f64 v[34:35], v[153:154], v[34:35]
	v_add_f64 v[36:37], v[157:158], v[36:37]
	v_add_f64 v[48:49], v[54:55], v[48:49]
	v_fma_f64 v[143:144], v[40:41], s[8:9], v[189:190]
	v_add_f64 v[30:31], v[30:31], v[68:69]
	v_add_f64 v[42:43], v[149:150], v[42:43]
	;; [unrolled: 1-line block ×3, first 2 shown]
	v_fma_f64 v[98:99], v[40:41], s[0:1], v[185:186]
	v_add_f64 v[32:33], v[134:135], v[32:33]
	v_add_f64 v[26:27], v[26:27], v[66:67]
	v_fma_f64 v[54:55], v[40:41], s[18:19], v[28:29]
	v_fma_f64 v[28:29], v[40:41], s[14:15], v[28:29]
	;; [unrolled: 1-line block ×5, first 2 shown]
	v_add_f64 v[38:39], v[44:45], v[38:39]
	v_add_f64 v[44:45], v[46:47], v[58:59]
	;; [unrolled: 1-line block ×4, first 2 shown]
	v_mul_lo_u32 v92, v176, 52
	v_add_f64 v[52:53], v[130:131], v[60:61]
	v_add_f64 v[34:35], v[145:146], v[34:35]
	;; [unrolled: 1-line block ×10, first 2 shown]
	v_or_b32_e32 v40, v92, v196
	v_lshl_add_u32 v40, v40, 3, 0
	ds_write2_b64 v40, v[46:47], v[50:51] offset0:8 offset1:12
	ds_write2_b64 v40, v[52:53], v[34:35] offset0:16 offset1:20
	;; [unrolled: 1-line block ×5, first 2 shown]
	ds_write2_b64 v40, v[26:27], v[44:45] offset1:4
	ds_write_b64 v40, v[38:39] offset:384
.LBB0_21:
	s_or_b32 exec_lo, exec_lo, s33
	v_and_b32_e32 v28, 0xff, v120
	v_and_b32_e32 v29, 0xff, v122
	v_mov_b32_e32 v34, 0x4ec5
	v_mov_b32_e32 v105, 0
	s_waitcnt lgkmcnt(0)
	v_mul_lo_u16 v30, 0x4f, v28
	v_mul_lo_u16 v31, 0x4f, v29
	v_mul_u32_u24_sdwa v61, v124, v34 dst_sel:DWORD dst_unused:UNUSED_PAD src0_sel:WORD_0 src1_sel:DWORD
	v_mul_u32_u24_sdwa v114, v126, v34 dst_sel:DWORD dst_unused:UNUSED_PAD src0_sel:WORD_0 src1_sel:DWORD
	;; [unrolled: 1-line block ×3, first 2 shown]
	v_lshrrev_b16 v30, 12, v30
	v_lshrrev_b16 v31, 12, v31
	v_lshrrev_b32_e32 v32, 20, v61
	v_lshrrev_b32_e32 v33, 20, v114
	;; [unrolled: 1-line block ×3, first 2 shown]
	v_mul_lo_u16 v30, v30, 52
	v_mul_lo_u16 v31, v31, 52
	;; [unrolled: 1-line block ×4, first 2 shown]
	v_lshlrev_b64 v[26:27], 4, v[104:105]
	v_sub_nc_u16 v30, v120, v30
	v_sub_nc_u16 v31, v122, v31
	;; [unrolled: 1-line block ×4, first 2 shown]
	v_mul_lo_u16 v35, v35, 52
	v_and_b32_e32 v119, 0xff, v30
	v_and_b32_e32 v121, 0xff, v31
	;; [unrolled: 1-line block ×3, first 2 shown]
	v_add_co_u32 v36, s0, s12, v26
	v_and_b32_e32 v125, 0xffff, v33
	v_add_co_ci_u32_e64 v37, s0, s13, v27, s0
	v_sub_nc_u16 v30, v110, v35
	v_lshlrev_b32_e32 v31, 4, v119
	v_mul_u32_u24_sdwa v50, v111, v34 dst_sel:DWORD dst_unused:UNUSED_PAD src0_sel:WORD_0 src1_sel:DWORD
	v_lshlrev_b32_e32 v35, 4, v121
	v_lshlrev_b32_e32 v42, 4, v123
	;; [unrolled: 1-line block ×3, first 2 shown]
	s_barrier
	buffer_gl0_inv
	global_load_dwordx4 v[26:29], v[36:37], off offset:800
	v_and_b32_e32 v131, 0xffff, v30
	s_clause 0x3
	global_load_dwordx4 v[30:33], v31, s[12:13] offset:800
	global_load_dwordx4 v[38:41], v35, s[12:13] offset:800
	;; [unrolled: 1-line block ×4, first 2 shown]
	v_lshrrev_b32_e32 v46, 20, v50
	v_mul_u32_u24_sdwa v47, v112, v34 dst_sel:DWORD dst_unused:UNUSED_PAD src0_sel:WORD_0 src1_sel:DWORD
	v_mul_u32_u24_sdwa v48, v113, v34 dst_sel:DWORD dst_unused:UNUSED_PAD src0_sel:WORD_0 src1_sel:DWORD
	;; [unrolled: 1-line block ×4, first 2 shown]
	v_mul_lo_u16 v46, v46, 52
	v_lshrrev_b32_e32 v47, 20, v47
	v_lshrrev_b32_e32 v48, 20, v48
	;; [unrolled: 1-line block ×4, first 2 shown]
	v_sub_nc_u16 v46, v111, v46
	v_mul_lo_u16 v47, v47, 52
	v_mul_lo_u16 v48, v48, 52
	;; [unrolled: 1-line block ×4, first 2 shown]
	v_and_b32_e32 v187, 0xffff, v46
	v_sub_nc_u16 v46, v112, v47
	v_sub_nc_u16 v47, v113, v48
	;; [unrolled: 1-line block ×4, first 2 shown]
	v_lshlrev_b32_e32 v35, 4, v131
	v_and_b32_e32 v188, 0xffff, v46
	v_and_b32_e32 v189, 0xffff, v47
	v_lshlrev_b32_e32 v49, 4, v187
	v_and_b32_e32 v190, 0xffff, v48
	v_and_b32_e32 v191, 0xffff, v34
	v_lshlrev_b32_e32 v34, 4, v188
	s_clause 0x1
	global_load_dwordx4 v[55:58], v35, s[12:13] offset:800
	global_load_dwordx4 v[64:67], v49, s[12:13] offset:800
	v_lshlrev_b32_e32 v35, 4, v189
	v_lshlrev_b32_e32 v46, 4, v190
	;; [unrolled: 1-line block ×3, first 2 shown]
	s_clause 0x3
	global_load_dwordx4 v[68:71], v34, s[12:13] offset:800
	global_load_dwordx4 v[96:99], v35, s[12:13] offset:800
	;; [unrolled: 1-line block ×4, first 2 shown]
	v_lshrrev_b32_e32 v61, 21, v61
	ds_read2_b64 v[151:154], v140 offset0:112 offset1:164
	ds_read_b64 v[34:35], v192
	ds_read_b64 v[46:47], v193
	;; [unrolled: 1-line block ×3, first 2 shown]
	ds_read2_b64 v[155:158], v142 offset0:88 offset1:140
	ds_read2_b64 v[159:162], v139 offset0:64 offset1:116
	ds_read_b64 v[92:93], v94
	ds_read_b64 v[100:101], v95
	;; [unrolled: 1-line block ×4, first 2 shown]
	ds_read2_b64 v[163:166], v139 offset0:168 offset1:220
	ds_read2_b64 v[167:170], v141 offset0:16 offset1:68
	ds_read_b64 v[177:178], v132
	ds_read_b64 v[179:180], v133
	;; [unrolled: 1-line block ×4, first 2 shown]
	ds_read2_b64 v[171:174], v141 offset0:120 offset1:172
	ds_read_b64 v[185:186], v138
	v_mov_b32_e32 v128, v105
	v_mov_b32_e32 v130, v105
	v_lshrrev_b32_e32 v114, 21, v114
	v_mul_lo_u16 v61, 0x68, v61
	v_lshrrev_b32_e32 v116, 21, v116
	v_lshlrev_b64 v[127:128], 4, v[127:128]
	v_lshlrev_b64 v[129:130], 4, v[129:130]
	v_mul_lo_u16 v114, 0x68, v114
	v_sub_nc_u16 v217, v124, v61
	v_lshl_add_u32 v61, v119, 3, 0
	v_lshl_add_u32 v119, v121, 3, 0
	;; [unrolled: 1-line block ×10, first 2 shown]
	v_add_nc_u32_e32 v191, 0x400, v61
	v_add_nc_u32_e32 v218, 0x1800, v187
	;; [unrolled: 1-line block ×5, first 2 shown]
	v_add_co_u32 v127, s0, s12, v127
	v_add_co_ci_u32_e64 v128, s0, s13, v128, s0
	v_add_co_u32 v129, s0, s12, v129
	v_add_co_ci_u32_e64 v130, s0, s13, v130, s0
	v_add_nc_u32_e32 v48, 0xc00, v192
	v_add_nc_u32_e32 v119, 0x800, v119
	;; [unrolled: 1-line block ×4, first 2 shown]
	s_waitcnt vmcnt(0) lgkmcnt(0)
	s_barrier
	buffer_gl0_inv
	v_add_nc_u32_e32 v123, 0x1000, v123
	v_add_nc_u32_e32 v125, 0x1000, v125
	;; [unrolled: 1-line block ×3, first 2 shown]
	v_lshrrev_b32_e32 v50, 21, v50
	s_mov_b32 s6, 0xe8584caa
	s_mov_b32 s7, 0xbfebb67a
	;; [unrolled: 1-line block ×4, first 2 shown]
	v_mul_lo_u16 v50, 0x68, v50
	v_add_nc_u32_e32 v231, 0x800, v193
	v_sub_nc_u16 v50, v111, v50
	v_and_b32_e32 v50, 0xffff, v50
	v_lshl_add_u32 v232, v50, 3, 0
	v_add_nc_u32_e32 v236, 0x1c00, v232
	v_mul_f64 v[197:198], v[155:156], v[32:33]
	v_mul_f64 v[187:188], v[151:152], v[28:29]
	;; [unrolled: 1-line block ×12, first 2 shown]
	v_fma_f64 v[2:3], v[2:3], v[30:31], v[197:198]
	v_fma_f64 v[6:7], v[6:7], v[26:27], v[187:188]
	v_fma_f64 v[151:152], v[151:152], v[26:27], -v[189:190]
	v_fma_f64 v[8:9], v[8:9], v[26:27], v[195:196]
	v_fma_f64 v[26:27], v[153:154], v[26:27], -v[28:29]
	v_fma_f64 v[28:29], v[155:156], v[30:31], -v[32:33]
	v_fma_f64 v[4:5], v[4:5], v[38:39], v[199:200]
	v_fma_f64 v[30:31], v[157:158], v[38:39], -v[40:41]
	v_mul_f64 v[205:206], v[163:164], v[57:58]
	v_mul_f64 v[57:58], v[10:11], v[57:58]
	;; [unrolled: 1-line block ×12, first 2 shown]
	v_fma_f64 v[14:15], v[14:15], v[42:43], v[201:202]
	v_fma_f64 v[32:33], v[159:160], v[42:43], -v[44:45]
	v_fma_f64 v[16:17], v[16:17], v[51:52], v[203:204]
	v_fma_f64 v[38:39], v[161:162], v[51:52], -v[53:54]
	v_add_f64 v[6:7], v[76:77], -v[6:7]
	v_add_f64 v[8:9], v[74:75], -v[8:9]
	;; [unrolled: 1-line block ×4, first 2 shown]
	v_fma_f64 v[10:11], v[10:11], v[55:56], v[205:206]
	v_fma_f64 v[40:41], v[163:164], v[55:56], -v[57:58]
	v_fma_f64 v[12:13], v[12:13], v[64:65], v[207:208]
	v_fma_f64 v[42:43], v[165:166], v[64:65], -v[66:67]
	v_fma_f64 v[22:23], v[22:23], v[68:69], v[209:210]
	v_fma_f64 v[24:25], v[24:25], v[96:97], v[211:212]
	v_fma_f64 v[44:45], v[167:168], v[68:69], -v[70:71]
	v_fma_f64 v[18:19], v[18:19], v[143:144], v[213:214]
	v_fma_f64 v[51:52], v[169:170], v[96:97], -v[98:99]
	v_fma_f64 v[20:21], v[20:21], v[147:148], v[215:216]
	v_fma_f64 v[53:54], v[171:172], v[143:144], -v[145:146]
	v_fma_f64 v[55:56], v[173:174], v[147:148], -v[149:150]
	v_add_f64 v[57:58], v[34:35], -v[151:152]
	v_add_f64 v[64:65], v[46:47], -v[26:27]
	;; [unrolled: 1-line block ×8, first 2 shown]
	v_fma_f64 v[26:27], v[76:77], 2.0, -v[6:7]
	v_fma_f64 v[28:29], v[74:75], 2.0, -v[8:9]
	v_add_f64 v[10:11], v[82:83], -v[10:11]
	v_add_f64 v[98:99], v[175:176], -v[40:41]
	;; [unrolled: 1-line block ×12, first 2 shown]
	v_fma_f64 v[76:77], v[34:35], 2.0, -v[57:58]
	v_fma_f64 v[74:75], v[46:47], 2.0, -v[64:65]
	;; [unrolled: 1-line block ×22, first 2 shown]
	ds_write2_b64 v192, v[26:27], v[6:7] offset1:52
	ds_write2_b64 v192, v[28:29], v[8:9] offset0:104 offset1:156
	ds_write2_b64 v191, v[0:1], v[2:3] offset0:80 offset1:132
	;; [unrolled: 1-line block ×11, first 2 shown]
	s_waitcnt lgkmcnt(0)
	s_barrier
	buffer_gl0_inv
	ds_read_b64 v[40:41], v192
	ds_read2_b64 v[0:3], v139 offset0:12 offset1:64
	ds_read2_b64 v[24:27], v48 offset0:84 offset1:136
	;; [unrolled: 1-line block ×7, first 2 shown]
	ds_read_b64 v[38:39], v94
	ds_read_b64 v[34:35], v95
	;; [unrolled: 1-line block ×8, first 2 shown]
	ds_read_b64 v[46:47], v192 offset:9568
	s_waitcnt lgkmcnt(0)
	s_barrier
	buffer_gl0_inv
	ds_write2_b64 v192, v[76:77], v[57:58] offset1:52
	ds_write2_b64 v192, v[74:75], v[64:65] offset0:104 offset1:156
	ds_write2_b64 v191, v[59:60], v[66:67] offset0:80 offset1:132
	;; [unrolled: 1-line block ×11, first 2 shown]
	s_waitcnt lgkmcnt(0)
	s_barrier
	buffer_gl0_inv
	s_clause 0x1
	global_load_dwordx4 v[51:54], v[127:128], off offset:1632
	global_load_dwordx4 v[55:58], v[129:130], off offset:1632
	v_mul_lo_u16 v59, 0x68, v116
	v_sub_nc_u16 v60, v126, v114
	v_and_b32_e32 v61, 0xffff, v217
	s_clause 0x1
	global_load_dwordx4 v[72:75], v[127:128], off offset:1648
	global_load_dwordx4 v[76:79], v[129:130], off offset:1648
	v_sub_nc_u16 v59, v110, v59
	v_and_b32_e32 v114, 0xffff, v60
	v_lshlrev_b32_e32 v60, 5, v61
	v_mov_b32_e32 v119, v105
	v_mov_b32_e32 v121, v105
	v_and_b32_e32 v116, 0xffff, v59
	v_lshlrev_b32_e32 v59, 5, v114
	s_clause 0x2
	global_load_dwordx4 v[80:83], v60, s[12:13] offset:1632
	global_load_dwordx4 v[84:87], v60, s[12:13] offset:1648
	;; [unrolled: 1-line block ×3, first 2 shown]
	v_lshlrev_b32_e32 v60, 5, v116
	global_load_dwordx4 v[96:99], v59, s[12:13] offset:1648
	v_mov_b32_e32 v123, v105
	v_mov_b32_e32 v125, v105
	v_lshlrev_b64 v[64:65], 4, v[120:121]
	global_load_dwordx4 v[128:131], v60, s[12:13] offset:1632
	v_lshlrev_b32_e32 v59, 5, v50
	s_clause 0x2
	global_load_dwordx4 v[143:146], v60, s[12:13] offset:1648
	global_load_dwordx4 v[147:150], v59, s[12:13] offset:1632
	;; [unrolled: 1-line block ×3, first 2 shown]
	v_lshlrev_b64 v[59:60], 4, v[118:119]
	v_lshlrev_b64 v[66:67], 4, v[122:123]
	;; [unrolled: 1-line block ×3, first 2 shown]
	ds_read_b64 v[177:178], v133
	ds_read2_b64 v[118:121], v48 offset0:84 offset1:136
	ds_read_b64 v[179:180], v192
	ds_read2_b64 v[122:125], v139 offset0:12 offset1:64
	ds_read2_b64 v[155:158], v139 offset0:116 offset1:168
	;; [unrolled: 1-line block ×6, first 2 shown]
	ds_read_b64 v[48:49], v94
	ds_read_b64 v[181:182], v95
	;; [unrolled: 1-line block ×7, first 2 shown]
	ds_read_b64 v[197:198], v192 offset:9568
	v_add_co_u32 v92, s0, 0x1000, v36
	v_add_co_ci_u32_e64 v93, s0, 0, v37, s0
	v_add_co_u32 v62, s0, s12, v59
	v_mov_b32_e32 v127, v105
	v_add_co_ci_u32_e64 v63, s0, s13, v60, s0
	v_add_co_u32 v64, s0, s12, v64
	v_add_co_ci_u32_e64 v65, s0, s13, v65, s0
	v_lshlrev_b64 v[70:71], 4, v[126:127]
	v_add_co_u32 v66, s0, s12, v66
	v_add_co_ci_u32_e64 v67, s0, s13, v67, s0
	v_add_co_u32 v68, s0, s12, v68
	v_add_co_ci_u32_e64 v69, s0, s13, v69, s0
	;; [unrolled: 2-line block ×5, first 2 shown]
	v_add_co_u32 v134, s0, 0x1000, v66
	v_lshl_add_u32 v61, v61, 3, 0
	v_lshl_add_u32 v114, v114, 3, 0
	;; [unrolled: 1-line block ×3, first 2 shown]
	v_add_co_ci_u32_e64 v135, s0, 0, v67, s0
	v_add_co_u32 v175, s0, 0x1000, v68
	v_add_nc_u32_e32 v191, 0x800, v192
	v_add_co_ci_u32_e64 v176, s0, 0, v69, s0
	v_add_nc_u32_e32 v233, 0x1000, v61
	v_add_nc_u32_e32 v234, 0x1000, v114
	;; [unrolled: 1-line block ×3, first 2 shown]
	s_waitcnt vmcnt(0) lgkmcnt(0)
	s_barrier
	buffer_gl0_inv
	v_mul_f64 v[199:200], v[177:178], v[53:54]
	v_mul_f64 v[201:202], v[118:119], v[57:58]
	;; [unrolled: 1-line block ×24, first 2 shown]
	v_fma_f64 v[24:25], v[24:25], v[55:56], v[201:202]
	v_fma_f64 v[26:27], v[26:27], v[51:52], v[203:204]
	v_mul_f64 v[201:202], v[169:170], v[130:131]
	v_fma_f64 v[100:101], v[100:101], v[51:52], v[199:200]
	v_mul_f64 v[130:131], v[10:11], v[130:131]
	v_fma_f64 v[177:178], v[177:178], v[51:52], -v[205:206]
	v_mul_f64 v[199:200], v[173:174], v[145:146]
	v_fma_f64 v[50:51], v[120:121], v[51:52], -v[53:54]
	v_mul_f64 v[52:53], v[6:7], v[145:146]
	v_mul_f64 v[120:121], v[122:123], v[149:150]
	;; [unrolled: 1-line block ×5, first 2 shown]
	v_fma_f64 v[2:3], v[2:3], v[72:73], v[207:208]
	v_fma_f64 v[124:125], v[124:125], v[72:73], -v[209:210]
	v_fma_f64 v[118:119], v[118:119], v[55:56], -v[211:212]
	v_fma_f64 v[20:21], v[20:21], v[76:77], v[213:214]
	v_fma_f64 v[155:156], v[155:156], v[76:77], -v[215:216]
	v_fma_f64 v[22:23], v[22:23], v[72:73], v[217:218]
	;; [unrolled: 2-line block ×12, first 2 shown]
	v_fma_f64 v[86:87], v[197:198], v[151:152], -v[153:154]
	v_add_f64 v[90:91], v[100:101], v[2:3]
	v_add_f64 v[120:121], v[177:178], v[124:125]
	v_add_f64 v[128:129], v[24:25], v[20:21]
	v_add_f64 v[130:131], v[118:119], -v[155:156]
	v_add_f64 v[143:144], v[195:196], v[118:119]
	v_add_f64 v[118:119], v[118:119], v[155:156]
	v_add_f64 v[147:148], v[26:27], v[22:23]
	v_add_f64 v[149:150], v[50:51], -v[72:73]
	;; [unrolled: 4-line block ×4, first 2 shown]
	v_add_f64 v[169:170], v[181:182], v[74:75]
	v_add_f64 v[74:75], v[74:75], v[76:77]
	v_add_f64 v[96:97], v[177:178], -v[124:125]
	v_add_f64 v[98:99], v[179:180], v[177:178]
	v_add_f64 v[173:174], v[8:9], v[4:5]
	v_add_f64 v[177:178], v[78:79], -v[80:81]
	v_add_f64 v[197:198], v[183:184], v[78:79]
	v_add_f64 v[78:79], v[78:79], v[80:81]
	v_add_f64 v[201:202], v[10:11], v[6:7]
	v_add_f64 v[203:204], v[82:83], -v[52:53]
	v_add_f64 v[205:206], v[185:186], v[82:83]
	;; [unrolled: 4-line block ×3, first 2 shown]
	v_add_f64 v[84:85], v[84:85], v[86:87]
	v_add_f64 v[88:89], v[40:41], v[100:101]
	v_add_f64 v[100:101], v[100:101], -v[2:3]
	v_fma_f64 v[40:41], v[90:91], -0.5, v[40:41]
	v_fma_f64 v[90:91], v[120:121], -0.5, v[179:180]
	v_add_f64 v[122:123], v[44:45], v[24:25]
	v_add_f64 v[24:25], v[24:25], -v[20:21]
	v_fma_f64 v[44:45], v[128:129], -0.5, v[44:45]
	v_fma_f64 v[118:119], v[118:119], -0.5, v[195:196]
	;; [unrolled: 4-line block ×6, first 2 shown]
	v_add_f64 v[199:200], v[30:31], v[10:11]
	v_add_f64 v[10:11], v[10:11], -v[6:7]
	v_add_f64 v[54:55], v[169:170], v[76:77]
	v_add_f64 v[76:77], v[197:198], v[80:81]
	v_fma_f64 v[30:31], v[201:202], -0.5, v[30:31]
	v_fma_f64 v[80:81], v[82:83], -0.5, v[185:186]
	v_add_f64 v[207:208], v[28:29], v[0:1]
	v_add_f64 v[0:1], v[0:1], -v[46:47]
	v_fma_f64 v[28:29], v[209:210], -0.5, v[28:29]
	v_fma_f64 v[84:85], v[84:85], -0.5, v[187:188]
	v_add_f64 v[2:3], v[88:89], v[2:3]
	v_add_f64 v[88:89], v[98:99], v[124:125]
	;; [unrolled: 1-line block ×3, first 2 shown]
	v_fma_f64 v[86:87], v[96:97], s[6:7], v[40:41]
	v_fma_f64 v[40:41], v[96:97], s[8:9], v[40:41]
	v_fma_f64 v[96:97], v[100:101], s[8:9], v[90:91]
	v_fma_f64 v[90:91], v[100:101], s[6:7], v[90:91]
	v_add_f64 v[20:21], v[122:123], v[20:21]
	v_add_f64 v[98:99], v[143:144], v[155:156]
	v_fma_f64 v[100:101], v[130:131], s[6:7], v[44:45]
	v_fma_f64 v[120:121], v[24:25], s[8:9], v[118:119]
	v_fma_f64 v[44:45], v[130:131], s[8:9], v[44:45]
	v_fma_f64 v[24:25], v[24:25], s[6:7], v[118:119]
	v_add_f64 v[22:23], v[145:146], v[22:23]
	v_add_f64 v[72:73], v[151:152], v[72:73]
	v_fma_f64 v[118:119], v[149:150], s[6:7], v[42:43]
	v_fma_f64 v[122:123], v[26:27], s[8:9], v[50:51]
	v_fma_f64 v[42:43], v[149:150], s[8:9], v[42:43]
	v_fma_f64 v[26:27], v[26:27], s[6:7], v[50:51]
	v_add_f64 v[12:13], v[153:154], v[12:13]
	v_add_f64 v[56:57], v[161:162], v[56:57]
	v_fma_f64 v[50:51], v[159:160], s[6:7], v[38:39]
	v_fma_f64 v[124:125], v[16:17], s[8:9], v[48:49]
	v_fma_f64 v[38:39], v[159:160], s[8:9], v[38:39]
	v_fma_f64 v[48:49], v[16:17], s[6:7], v[48:49]
	v_add_f64 v[14:15], v[163:164], v[14:15]
	v_fma_f64 v[16:17], v[167:168], s[6:7], v[34:35]
	v_fma_f64 v[128:129], v[18:19], s[8:9], v[74:75]
	v_fma_f64 v[34:35], v[167:168], s[8:9], v[34:35]
	v_fma_f64 v[74:75], v[18:19], s[6:7], v[74:75]
	v_add_f64 v[4:5], v[171:172], v[4:5]
	v_fma_f64 v[18:19], v[177:178], s[6:7], v[32:33]
	v_fma_f64 v[145:146], v[8:9], s[8:9], v[78:79]
	v_fma_f64 v[32:33], v[177:178], s[8:9], v[32:33]
	v_fma_f64 v[78:79], v[8:9], s[6:7], v[78:79]
	v_add_f64 v[6:7], v[199:200], v[6:7]
	v_add_f64 v[52:53], v[205:206], v[52:53]
	v_fma_f64 v[130:131], v[203:204], s[6:7], v[30:31]
	v_fma_f64 v[147:148], v[10:11], s[8:9], v[80:81]
	;; [unrolled: 1-line block ×4, first 2 shown]
	v_add_f64 v[46:47], v[207:208], v[46:47]
	v_fma_f64 v[143:144], v[211:212], s[6:7], v[28:29]
	v_fma_f64 v[149:150], v[0:1], s[8:9], v[84:85]
	v_fma_f64 v[28:29], v[211:212], s[8:9], v[28:29]
	v_fma_f64 v[84:85], v[0:1], s[6:7], v[84:85]
	ds_write2_b64 v192, v[2:3], v[86:87] offset1:104
	ds_write_b64 v192, v[40:41] offset:1664
	ds_write2_b64 v193, v[20:21], v[100:101] offset1:104
	ds_write_b64 v193, v[44:45] offset:1664
	ds_write2_b64 v191, v[22:23], v[118:119] offset0:56 offset1:160
	ds_write_b64 v192, v[42:43] offset:4160
	ds_write2_b64 v231, v[12:13], v[50:51] offset0:56 offset1:160
	;; [unrolled: 2-line block ×6, first 2 shown]
	ds_write_b64 v232, v[28:29] offset:9152
	s_waitcnt lgkmcnt(0)
	s_barrier
	buffer_gl0_inv
	ds_read2_b64 v[0:3], v140 offset0:112 offset1:164
	ds_read2_b64 v[4:7], v142 offset0:88 offset1:140
	ds_read_b64 v[86:87], v192
	ds_read_b64 v[100:101], v193
	ds_read_b64 v[118:119], v194
	ds_read_b64 v[130:131], v94
	ds_read2_b64 v[8:11], v139 offset0:64 offset1:116
	ds_read2_b64 v[12:15], v139 offset0:168 offset1:220
	ds_read_b64 v[143:144], v95
	ds_read_b64 v[151:152], v102
	ds_read_b64 v[153:154], v103
	ds_read_b64 v[155:156], v132
	;; [unrolled: 6-line block ×3, first 2 shown]
	s_waitcnt lgkmcnt(0)
	s_barrier
	buffer_gl0_inv
	ds_write2_b64 v192, v[88:89], v[96:97] offset1:104
	ds_write_b64 v192, v[90:91] offset:1664
	ds_write2_b64 v193, v[98:99], v[120:121] offset1:104
	ds_write_b64 v193, v[24:25] offset:1664
	ds_write2_b64 v191, v[72:73], v[122:123] offset0:56 offset1:160
	ds_write_b64 v192, v[26:27] offset:4160
	ds_write2_b64 v231, v[56:57], v[124:125] offset0:56 offset1:160
	;; [unrolled: 2-line block ×6, first 2 shown]
	ds_write_b64 v232, v[84:85] offset:9152
	s_waitcnt lgkmcnt(0)
	s_barrier
	buffer_gl0_inv
	s_clause 0x2
	global_load_dwordx4 v[24:27], v[92:93], off offset:864
	global_load_dwordx4 v[28:31], v[59:60], off offset:864
	;; [unrolled: 1-line block ×3, first 2 shown]
	v_add_co_u32 v46, s0, 0x1000, v70
	v_add_co_ci_u32_e64 v47, s0, 0, v71, s0
	s_clause 0x2
	global_load_dwordx4 v[38:41], v[134:135], off offset:864
	global_load_dwordx4 v[42:45], v[175:176], off offset:864
	;; [unrolled: 1-line block ×3, first 2 shown]
	ds_read2_b64 v[50:53], v140 offset0:112 offset1:164
	ds_read2_b64 v[54:57], v142 offset0:88 offset1:140
	ds_read_b64 v[84:85], v192
	ds_read_b64 v[88:89], v193
	ds_read_b64 v[90:91], v194
	ds_read_b64 v[92:93], v94
	ds_read2_b64 v[58:61], v139 offset0:64 offset1:116
	ds_read2_b64 v[72:75], v139 offset0:168 offset1:220
	ds_read_b64 v[96:97], v95
	ds_read_b64 v[98:99], v102
	ds_read_b64 v[120:121], v103
	ds_read_b64 v[122:123], v132
	;; [unrolled: 6-line block ×3, first 2 shown]
	s_waitcnt vmcnt(0) lgkmcnt(0)
	s_barrier
	buffer_gl0_inv
	v_mul_f64 v[145:146], v[50:51], v[26:27]
	v_mul_f64 v[149:150], v[52:53], v[30:31]
	;; [unrolled: 1-line block ×22, first 2 shown]
	v_fma_f64 v[0:1], v[0:1], v[24:25], v[145:146]
	v_fma_f64 v[2:3], v[2:3], v[28:29], v[149:150]
	;; [unrolled: 1-line block ×10, first 2 shown]
	v_mul_f64 v[44:45], v[20:21], v[44:45]
	v_fma_f64 v[20:21], v[20:21], v[42:43], v[195:196]
	v_mul_f64 v[48:49], v[22:23], v[48:49]
	v_fma_f64 v[22:23], v[22:23], v[46:47], v[197:198]
	v_fma_f64 v[50:51], v[50:51], v[24:25], -v[147:148]
	v_fma_f64 v[52:53], v[52:53], v[28:29], -v[165:166]
	;; [unrolled: 1-line block ×8, first 2 shown]
	v_add_f64 v[0:1], v[86:87], -v[0:1]
	v_add_f64 v[2:3], v[100:101], -v[2:3]
	v_add_f64 v[4:5], v[118:119], -v[4:5]
	v_add_f64 v[12:13], v[153:154], -v[12:13]
	v_add_f64 v[14:15], v[155:156], -v[14:15]
	v_add_f64 v[16:17], v[157:158], -v[16:17]
	v_add_f64 v[6:7], v[130:131], -v[6:7]
	v_add_f64 v[8:9], v[143:144], -v[8:9]
	v_add_f64 v[10:11], v[151:152], -v[10:11]
	v_add_f64 v[18:19], v[159:160], -v[18:19]
	v_fma_f64 v[30:31], v[78:79], v[38:39], -v[40:41]
	v_add_f64 v[20:21], v[161:162], -v[20:21]
	v_fma_f64 v[28:29], v[76:77], v[32:33], -v[34:35]
	v_add_f64 v[22:23], v[163:164], -v[22:23]
	v_fma_f64 v[32:33], v[80:81], v[42:43], -v[44:45]
	v_fma_f64 v[34:35], v[82:83], v[46:47], -v[48:49]
	v_add_f64 v[72:73], v[84:85], -v[50:51]
	v_add_f64 v[74:75], v[88:89], -v[52:53]
	;; [unrolled: 1-line block ×6, first 2 shown]
	v_fma_f64 v[38:39], v[86:87], 2.0, -v[0:1]
	v_fma_f64 v[40:41], v[100:101], 2.0, -v[2:3]
	;; [unrolled: 1-line block ×10, first 2 shown]
	v_add_f64 v[24:25], v[120:121], -v[24:25]
	v_fma_f64 v[58:59], v[161:162], 2.0, -v[20:21]
	v_add_f64 v[26:27], v[122:123], -v[26:27]
	v_fma_f64 v[60:61], v[163:164], 2.0, -v[22:23]
	ds_write_b64 v192, v[0:1] offset:2496
	ds_write_b64 v192, v[38:39]
	ds_write_b64 v193, v[40:41]
	ds_write_b64 v193, v[2:3] offset:2496
	ds_write_b64 v194, v[42:43]
	ds_write_b64 v194, v[4:5] offset:2496
	;; [unrolled: 2-line block ×5, first 2 shown]
	ds_write_b64 v192, v[50:51] offset:4992
	ds_write_b64 v192, v[12:13] offset:7488
	;; [unrolled: 1-line block ×12, first 2 shown]
	s_waitcnt lgkmcnt(0)
	s_barrier
	buffer_gl0_inv
	ds_read2_b64 v[4:7], v140 offset0:112 offset1:164
	ds_read2_b64 v[8:11], v142 offset0:88 offset1:140
	ds_read_b64 v[48:49], v192
	ds_read_b64 v[46:47], v193
	ds_read_b64 v[44:45], v194
	ds_read_b64 v[42:43], v94
	ds_read2_b64 v[16:19], v139 offset0:64 offset1:116
	ds_read2_b64 v[0:3], v139 offset0:168 offset1:220
	ds_read_b64 v[50:51], v95
	ds_read_b64 v[52:53], v102
	ds_read_b64 v[38:39], v103
	ds_read_b64 v[40:41], v132
	;; [unrolled: 6-line block ×3, first 2 shown]
	v_add_f64 v[28:29], v[124:125], -v[28:29]
	v_add_f64 v[30:31], v[126:127], -v[30:31]
	;; [unrolled: 1-line block ×4, first 2 shown]
	v_fma_f64 v[84:85], v[84:85], 2.0, -v[72:73]
	v_fma_f64 v[86:87], v[88:89], 2.0, -v[74:75]
	;; [unrolled: 1-line block ×8, first 2 shown]
	s_waitcnt lgkmcnt(0)
	s_barrier
	buffer_gl0_inv
	v_fma_f64 v[118:119], v[124:125], 2.0, -v[28:29]
	v_fma_f64 v[120:121], v[126:127], 2.0, -v[30:31]
	;; [unrolled: 1-line block ×4, first 2 shown]
	ds_write_b64 v192, v[84:85]
	ds_write_b64 v192, v[72:73] offset:2496
	ds_write_b64 v193, v[86:87]
	ds_write_b64 v193, v[74:75] offset:2496
	;; [unrolled: 2-line block ×6, first 2 shown]
	ds_write_b64 v192, v[98:99] offset:4992
	ds_write_b64 v192, v[24:25] offset:7488
	;; [unrolled: 1-line block ×12, first 2 shown]
	s_waitcnt lgkmcnt(0)
	s_barrier
	buffer_gl0_inv
	s_and_saveexec_b32 s0, vcc_lo
	s_cbranch_execz .LBB0_23
; %bb.22:
	v_mov_b32_e32 v118, v105
	v_mov_b32_e32 v116, v105
	;; [unrolled: 1-line block ×3, first 2 shown]
	v_lshrrev_b32_e32 v151, 4, v104
	v_add_nc_u32_e32 v152, 52, v104
	v_lshlrev_b64 v[24:25], 4, v[117:118]
	v_lshlrev_b64 v[26:27], 4, v[115:116]
	v_mul_lo_u32 v150, s5, v108
	v_mul_lo_u32 v109, s4, v109
	v_mad_u64_u32 v[142:143], null, s4, v108, 0
	v_add_co_u32 v24, vcc_lo, s12, v24
	v_add_co_ci_u32_e32 v25, vcc_lo, s13, v25, vcc_lo
	v_add_co_u32 v28, vcc_lo, s12, v26
	v_add_co_ci_u32_e32 v29, vcc_lo, s13, v27, vcc_lo
	v_add_co_u32 v24, vcc_lo, 0x2000, v24
	v_lshlrev_b64 v[26:27], 4, v[113:114]
	v_add_co_ci_u32_e32 v25, vcc_lo, 0, v25, vcc_lo
	v_add_co_u32 v28, vcc_lo, 0x2000, v28
	v_mov_b32_e32 v113, v105
	v_add_co_ci_u32_e32 v29, vcc_lo, 0, v29, vcc_lo
	v_add_co_u32 v26, vcc_lo, s12, v26
	v_add_co_ci_u32_e32 v27, vcc_lo, s13, v27, vcc_lo
	v_lshlrev_b64 v[72:73], 4, v[112:113]
	v_add_co_u32 v26, vcc_lo, 0x2000, v26
	v_mov_b32_e32 v112, v105
	v_add_co_ci_u32_e32 v27, vcc_lo, 0, v27, vcc_lo
	v_add_co_u32 v74, vcc_lo, s12, v72
	v_add_co_ci_u32_e32 v75, vcc_lo, s13, v73, vcc_lo
	v_lshlrev_b64 v[72:73], 4, v[111:112]
	v_add_co_u32 v74, vcc_lo, 0x2000, v74
	v_add_co_ci_u32_e32 v75, vcc_lo, 0, v75, vcc_lo
	v_mov_b32_e32 v111, v105
	v_add_co_u32 v76, vcc_lo, s12, v72
	v_add_co_ci_u32_e32 v77, vcc_lo, s13, v73, vcc_lo
	v_add_co_u32 v70, vcc_lo, 0x2000, v70
	v_add_co_ci_u32_e32 v71, vcc_lo, 0, v71, vcc_lo
	;; [unrolled: 2-line block ×6, first 2 shown]
	v_add_co_u32 v36, vcc_lo, 0x2000, v36
	s_clause 0x2
	global_load_dwordx4 v[32:35], v[24:25], off offset:1760
	global_load_dwordx4 v[28:31], v[28:29], off offset:1760
	;; [unrolled: 1-line block ×3, first 2 shown]
	v_lshlrev_b64 v[72:73], 4, v[110:111]
	v_add_co_ci_u32_e32 v37, vcc_lo, 0, v37, vcc_lo
	s_clause 0x5
	global_load_dwordx4 v[80:83], v[70:71], off offset:1760
	global_load_dwordx4 v[84:87], v[68:69], off offset:1760
	;; [unrolled: 1-line block ×6, first 2 shown]
	v_add_nc_u32_e32 v153, 0x68, v104
	v_add_nc_u32_e32 v154, 0x9c, v104
	v_add_co_u32 v62, vcc_lo, s12, v72
	v_add_co_ci_u32_e32 v63, vcc_lo, s13, v73, vcc_lo
	v_add_co_u32 v36, vcc_lo, 0x2000, v76
	v_add_co_ci_u32_e32 v37, vcc_lo, 0, v77, vcc_lo
	;; [unrolled: 2-line block ×3, first 2 shown]
	s_clause 0x2
	global_load_dwordx4 v[118:121], v[74:75], off offset:1760
	global_load_dwordx4 v[122:125], v[36:37], off offset:1760
	;; [unrolled: 1-line block ×3, first 2 shown]
	v_add_nc_u32_e32 v155, 0xd0, v104
	v_add_nc_u32_e32 v156, 0x104, v104
	v_mul_hi_u32 v151, 0x1a41a41b, v151
	v_lshrrev_b32_e32 v158, 4, v152
	v_lshrrev_b32_e32 v159, 4, v153
	v_add_nc_u32_e32 v157, 0x138, v104
	v_lshrrev_b32_e32 v160, 4, v154
	v_lshrrev_b32_e32 v161, 4, v155
	;; [unrolled: 1-line block ×3, first 2 shown]
	v_add3_u32 v143, v143, v109, v150
	v_mul_hi_u32 v109, 0x1a41a41b, v158
	v_mul_hi_u32 v150, 0x1a41a41b, v159
	v_lshrrev_b32_e32 v163, 4, v157
	v_mul_hi_u32 v158, 0x1a41a41b, v160
	v_lshrrev_b32_e32 v151, 2, v151
	v_mul_hi_u32 v159, 0x1a41a41b, v161
	v_mul_hi_u32 v160, 0x1a41a41b, v162
	v_lshlrev_b64 v[142:143], 4, v[142:143]
	v_add_nc_u32_e32 v196, 0x16c, v104
	v_mul_hi_u32 v161, 0x1a41a41b, v163
	v_mul_u32_u24_e32 v151, 0x270, v151
	v_lshrrev_b32_e32 v109, 2, v109
	v_lshlrev_b64 v[148:149], 4, v[106:107]
	v_lshrrev_b32_e32 v150, 2, v150
	v_lshrrev_b32_e32 v164, 4, v196
	;; [unrolled: 1-line block ×3, first 2 shown]
	v_add_co_u32 v142, vcc_lo, s10, v142
	v_lshrrev_b32_e32 v159, 2, v159
	v_lshrrev_b32_e32 v160, 2, v160
	v_add_co_ci_u32_e32 v143, vcc_lo, s11, v143, vcc_lo
	v_sub_nc_u32_e32 v162, v104, v151
	v_mul_u32_u24_e32 v151, 0x270, v109
	v_mul_u32_u24_e32 v163, 0x270, v150
	v_mul_hi_u32 v197, 0x1a41a41b, v164
	v_lshrrev_b32_e32 v161, 2, v161
	v_mul_u32_u24_e32 v164, 0x270, v158
	v_add_co_u32 v198, vcc_lo, v142, v148
	v_mul_u32_u24_e32 v165, 0x270, v159
	v_mul_u32_u24_e32 v166, 0x270, v160
	v_add_co_ci_u32_e32 v199, vcc_lo, v143, v149, vcc_lo
	v_mad_u64_u32 v[142:143], null, s2, v162, 0
	v_add_nc_u32_e32 v171, 0x270, v162
	v_sub_nc_u32_e32 v151, v152, v151
	v_sub_nc_u32_e32 v152, v153, v163
	v_mul_u32_u24_e32 v167, 0x270, v161
	v_sub_nc_u32_e32 v153, v154, v164
	v_sub_nc_u32_e32 v154, v155, v165
	;; [unrolled: 1-line block ×3, first 2 shown]
	v_mad_u64_u32 v[148:149], null, s2, v171, 0
	v_mad_u32_u24 v173, 0x4e0, v109, v151
	v_mad_u32_u24 v174, 0x4e0, v150, v152
	v_sub_nc_u32_e32 v156, v157, v167
	v_mad_u32_u24 v175, 0x4e0, v158, v153
	v_mov_b32_e32 v109, v143
	v_mad_u32_u24 v176, 0x4e0, v159, v154
	v_mad_u32_u24 v177, 0x4e0, v160, v155
	v_mad_u64_u32 v[150:151], null, s2, v173, 0
	v_add_nc_u32_e32 v178, 0x270, v173
	v_add_nc_u32_e32 v100, 0x2000, v192
	v_mad_u64_u32 v[152:153], null, s2, v174, 0
	v_add_nc_u32_e32 v130, 0x1800, v192
	v_mad_u32_u24 v200, 0x4e0, v161, v156
	v_add_nc_u32_e32 v179, 0x270, v174
	v_mad_u64_u32 v[154:155], null, s2, v175, 0
	v_add_nc_u32_e32 v180, 0x270, v175
	v_mad_u64_u32 v[156:157], null, s2, v176, 0
	ds_read_b64 v[70:71], v138
	ds_read_b64 v[68:69], v137
	;; [unrolled: 1-line block ×4, first 2 shown]
	v_add_nc_u32_e32 v134, 0x1400, v192
	v_add_nc_u32_e32 v138, 0x1000, v192
	v_mad_u64_u32 v[158:159], null, s2, v177, 0
	v_add_nc_u32_e32 v182, 0x270, v177
	ds_read_b64 v[64:65], v132
	ds_read_b64 v[36:37], v103
	;; [unrolled: 1-line block ×8, first 2 shown]
	ds_read2_b64 v[92:95], v100 offset0:120 offset1:172
	ds_read2_b64 v[100:103], v100 offset0:16 offset1:68
	;; [unrolled: 1-line block ×6, first 2 shown]
	v_add_nc_u32_e32 v181, 0x270, v176
	v_mad_u64_u32 v[163:164], null, s2, v179, 0
	v_mad_u64_u32 v[165:166], null, s2, v180, 0
	;; [unrolled: 1-line block ×4, first 2 shown]
	s_waitcnt vmcnt(11)
	v_mul_f64 v[184:185], v[22:23], v[34:35]
	s_waitcnt lgkmcnt(5)
	v_mul_f64 v[34:35], v[94:95], v[34:35]
	s_waitcnt vmcnt(10)
	v_mul_f64 v[186:187], v[20:21], v[30:31]
	s_waitcnt vmcnt(9)
	v_mul_f64 v[188:189], v[14:15], v[26:27]
	s_waitcnt lgkmcnt(4)
	v_mul_f64 v[26:27], v[102:103], v[26:27]
	s_waitcnt vmcnt(4)
	v_mad_u64_u32 v[160:161], null, s3, v162, v[109:110]
	v_mov_b32_e32 v109, v149
	v_mad_u64_u32 v[161:162], null, s2, v178, 0
	v_mov_b32_e32 v149, v153
	v_mov_b32_e32 v153, v157
	v_mad_u64_u32 v[171:172], null, s3, v171, v[109:110]
	v_mov_b32_e32 v109, v151
	v_mov_b32_e32 v151, v155
	;; [unrolled: 1-line block ×5, first 2 shown]
	v_mad_u64_u32 v[159:160], null, s3, v173, v[109:110]
	v_mov_b32_e32 v109, v162
	v_mad_u64_u32 v[172:173], null, s3, v174, v[149:150]
	v_mad_u64_u32 v[173:174], null, s3, v175, v[151:152]
	v_mov_b32_e32 v151, v166
	v_mad_u64_u32 v[174:175], null, s3, v176, v[153:154]
	v_mad_u64_u32 v[175:176], null, s3, v177, v[155:156]
	v_mov_b32_e32 v155, v170
	v_mov_b32_e32 v149, v171
	v_mad_u64_u32 v[170:171], null, s3, v178, v[109:110]
	v_mov_b32_e32 v153, v168
	v_mad_u64_u32 v[176:177], null, s3, v179, v[157:158]
	v_mad_u64_u32 v[177:178], null, s3, v180, v[151:152]
	;; [unrolled: 1-line block ×4, first 2 shown]
	v_mov_b32_e32 v153, v172
	v_mov_b32_e32 v155, v173
	;; [unrolled: 1-line block ×3, first 2 shown]
	v_mul_f64 v[170:171], v[18:19], v[82:83]
	s_waitcnt lgkmcnt(2)
	v_mul_f64 v[82:83], v[132:133], v[82:83]
	v_mul_f64 v[172:173], v[16:17], v[86:87]
	;; [unrolled: 1-line block ×3, first 2 shown]
	s_waitcnt vmcnt(3)
	v_mul_f64 v[180:181], v[4:5], v[116:117]
	s_waitcnt lgkmcnt(0)
	v_mul_f64 v[116:117], v[138:139], v[116:117]
	v_mul_f64 v[182:183], v[6:7], v[112:113]
	;; [unrolled: 1-line block ×3, first 2 shown]
	v_mov_b32_e32 v164, v176
	v_mov_b32_e32 v166, v177
	v_mul_f64 v[176:177], v[8:9], v[98:99]
	v_mul_f64 v[98:99], v[134:135], v[98:99]
	v_mov_b32_e32 v151, v159
	v_mov_b32_e32 v157, v174
	;; [unrolled: 1-line block ×3, first 2 shown]
	v_mul_f64 v[174:175], v[10:11], v[90:91]
	v_mul_f64 v[90:91], v[136:137], v[90:91]
	s_waitcnt vmcnt(2)
	v_mul_f64 v[190:191], v[12:13], v[120:121]
	v_mul_f64 v[120:121], v[100:101], v[120:121]
	s_waitcnt vmcnt(0)
	v_mul_f64 v[194:195], v[0:1], v[128:129]
	v_mul_f64 v[128:129], v[105:106], v[128:129]
	;; [unrolled: 1-line block ×3, first 2 shown]
	v_fma_f64 v[132:133], v[80:81], v[132:133], -v[170:171]
	v_fma_f64 v[18:19], v[18:19], v[80:81], v[82:83]
	v_fma_f64 v[80:81], v[84:85], v[130:131], -v[172:173]
	v_fma_f64 v[82:83], v[16:17], v[84:85], v[86:87]
	;; [unrolled: 2-line block ×4, first 2 shown]
	v_mul_f64 v[192:193], v[2:3], v[124:125]
	v_mul_f64 v[124:125], v[107:108], v[124:125]
	v_fma_f64 v[111:112], v[96:97], v[134:135], -v[176:177]
	v_fma_f64 v[96:97], v[8:9], v[96:97], v[98:99]
	v_lshlrev_b64 v[142:143], 4, v[142:143]
	v_lshlrev_b64 v[148:149], 4, v[148:149]
	;; [unrolled: 1-line block ×3, first 2 shown]
	v_fma_f64 v[84:85], v[88:89], v[136:137], -v[174:175]
	v_fma_f64 v[88:89], v[10:11], v[88:89], v[90:91]
	v_fma_f64 v[90:91], v[32:33], v[94:95], -v[184:185]
	v_fma_f64 v[32:33], v[22:23], v[32:33], v[34:35]
	v_fma_f64 v[34:35], v[28:29], v[92:93], -v[186:187]
	v_fma_f64 v[92:93], v[24:25], v[102:103], -v[188:189]
	v_fma_f64 v[94:95], v[14:15], v[24:25], v[26:27]
	v_fma_f64 v[98:99], v[118:119], v[100:101], -v[190:191]
	v_fma_f64 v[100:101], v[12:13], v[118:119], v[120:121]
	v_fma_f64 v[113:114], v[0:1], v[126:127], v[128:129]
	v_add_f64 v[0:1], v[52:53], -v[18:19]
	v_add_f64 v[10:11], v[146:147], -v[16:17]
	;; [unrolled: 1-line block ×5, first 2 shown]
	v_fma_f64 v[28:29], v[20:21], v[28:29], v[30:31]
	v_fma_f64 v[102:103], v[122:123], v[107:108], -v[192:193]
	v_add_f64 v[18:19], v[78:79], -v[111:112]
	v_add_f64 v[16:17], v[44:45], -v[96:97]
	v_add_f64 v[6:7], v[72:73], -v[80:81]
	v_add_f64 v[4:5], v[50:51], -v[82:83]
	v_add_co_u32 v142, vcc_lo, v198, v142
	v_add_f64 v[22:23], v[74:75], -v[84:85]
	v_add_f64 v[20:21], v[42:43], -v[88:89]
	v_add_co_ci_u32_e32 v143, vcc_lo, v199, v143, vcc_lo
	v_lshlrev_b64 v[152:153], 4, v[152:153]
	v_add_co_u32 v148, vcc_lo, v198, v148
	v_add_co_ci_u32_e32 v149, vcc_lo, v199, v149, vcc_lo
	v_lshlrev_b64 v[154:155], 4, v[154:155]
	v_add_co_u32 v150, vcc_lo, v198, v150
	v_add_f64 v[24:25], v[60:61], -v[32:33]
	v_add_f64 v[30:31], v[68:69], -v[34:35]
	;; [unrolled: 1-line block ×4, first 2 shown]
	v_fma_f64 v[94:95], v[146:147], 2.0, -v[10:11]
	v_fma_f64 v[92:93], v[48:49], 2.0, -v[8:9]
	v_add_co_ci_u32_e32 v151, vcc_lo, v199, v151, vcc_lo
	v_lshlrev_b64 v[156:157], 4, v[156:157]
	v_add_co_u32 v152, vcc_lo, v198, v152
	v_fma_f64 v[48:49], v[144:145], 2.0, -v[14:15]
	v_fma_f64 v[46:47], v[46:47], 2.0, -v[12:13]
	v_add_co_ci_u32_e32 v153, vcc_lo, v199, v153, vcc_lo
	v_add_f64 v[82:83], v[62:63], -v[98:99]
	v_fma_f64 v[98:99], v[78:79], 2.0, -v[18:19]
	v_fma_f64 v[96:97], v[44:45], 2.0, -v[16:17]
	v_lshlrev_b64 v[160:161], 4, v[161:162]
	v_add_co_u32 v154, vcc_lo, v198, v154
	v_fma_f64 v[44:45], v[74:75], 2.0, -v[22:23]
	v_fma_f64 v[42:43], v[42:43], 2.0, -v[20:21]
	v_add_co_ci_u32_e32 v155, vcc_lo, v199, v155, vcc_lo
	v_fma_f64 v[107:108], v[2:3], v[122:123], v[124:125]
	v_add_f64 v[2:3], v[76:77], -v[132:133]
	v_lshlrev_b64 v[162:163], 4, v[163:164]
	v_add_co_u32 v156, vcc_lo, v198, v156
	v_add_f64 v[80:81], v[54:55], -v[100:101]
	v_add_f64 v[86:87], v[64:65], -v[102:103]
	v_fma_f64 v[102:103], v[72:73], 2.0, -v[6:7]
	v_fma_f64 v[100:101], v[50:51], 2.0, -v[4:5]
	v_mov_b32_e32 v168, v178
	v_add_co_ci_u32_e32 v157, vcc_lo, v199, v157, vcc_lo
	v_lshlrev_b64 v[164:165], 4, v[165:166]
	v_add_co_u32 v160, vcc_lo, v198, v160
	v_add_co_ci_u32_e32 v161, vcc_lo, v199, v161, vcc_lo
	v_lshlrev_b64 v[166:167], 4, v[167:168]
	v_add_co_u32 v162, vcc_lo, v198, v162
	v_fma_f64 v[105:106], v[126:127], v[105:106], -v[194:195]
	v_add_co_ci_u32_e32 v163, vcc_lo, v199, v163, vcc_lo
	v_add_co_u32 v164, vcc_lo, v198, v164
	v_add_co_ci_u32_e32 v165, vcc_lo, v199, v165, vcc_lo
	v_add_co_u32 v166, vcc_lo, v198, v166
	v_add_co_ci_u32_e32 v167, vcc_lo, v199, v167, vcc_lo
	global_store_dwordx4 v[142:143], v[92:95], off
	global_store_dwordx4 v[148:149], v[8:11], off
	;; [unrolled: 1-line block ×10, first 2 shown]
	v_lshrrev_b32_e32 v15, 2, v197
	v_add_nc_u32_e32 v14, 0x270, v200
	v_mov_b32_e32 v170, v179
	v_fma_f64 v[76:77], v[76:77], 2.0, -v[2:3]
	v_fma_f64 v[74:75], v[52:53], 2.0, -v[0:1]
	v_mul_u32_u24_e32 v10, 0x270, v15
	v_mad_u64_u32 v[6:7], null, s2, v200, 0
	v_mad_u64_u32 v[8:9], null, s2, v14, 0
	v_sub_nc_u32_e32 v16, v196, v10
	v_lshlrev_b64 v[10:11], 4, v[169:170]
	v_lshlrev_b64 v[4:5], 4, v[158:159]
	v_add_nc_u32_e32 v17, 0x1a0, v104
	v_add_f64 v[26:27], v[70:71], -v[90:91]
	v_add_f64 v[84:85], v[40:41], -v[107:108]
	v_add_f64 v[90:91], v[36:37], -v[105:106]
	v_add_f64 v[88:89], v[38:39], -v[113:114]
	v_mad_u64_u32 v[12:13], null, s3, v200, v[7:8]
	v_mad_u64_u32 v[13:14], null, s3, v14, v[9:10]
	v_mad_u32_u24 v16, 0x4e0, v15, v16
	v_lshrrev_b32_e32 v9, 4, v17
	v_add_co_u32 v4, vcc_lo, v198, v4
	v_add_co_ci_u32_e32 v5, vcc_lo, v199, v5, vcc_lo
	v_mad_u64_u32 v[14:15], null, s2, v16, 0
	v_add_co_u32 v10, vcc_lo, v198, v10
	v_mov_b32_e32 v7, v12
	v_mul_hi_u32 v12, 0x1a41a41b, v9
	v_mov_b32_e32 v9, v13
	v_add_co_ci_u32_e32 v11, vcc_lo, v199, v11, vcc_lo
	global_store_dwordx4 v[4:5], v[74:77], off
	global_store_dwordx4 v[10:11], v[0:3], off
	v_lshlrev_b64 v[3:4], 4, v[8:9]
	v_mov_b32_e32 v2, v15
	v_add_nc_u32_e32 v8, 0x270, v16
	v_lshrrev_b32_e32 v9, 2, v12
	v_lshlrev_b64 v[0:1], 4, v[6:7]
	v_fma_f64 v[50:51], v[60:61], 2.0, -v[24:25]
	v_mad_u64_u32 v[5:6], null, s3, v16, v[2:3]
	v_mad_u64_u32 v[6:7], null, s2, v8, 0
	v_fma_f64 v[60:61], v[68:69], 2.0, -v[30:31]
	v_fma_f64 v[68:69], v[66:67], 2.0, -v[34:35]
	;; [unrolled: 1-line block ×7, first 2 shown]
	v_mul_u32_u24_e32 v2, 0x270, v9
	v_add_co_u32 v0, vcc_lo, v198, v0
	v_add_co_ci_u32_e32 v1, vcc_lo, v199, v1, vcc_lo
	v_sub_nc_u32_e32 v10, v17, v2
	v_add_co_u32 v2, vcc_lo, v198, v3
	v_add_co_ci_u32_e32 v3, vcc_lo, v199, v4, vcc_lo
	v_mov_b32_e32 v4, v7
	v_add_nc_u32_e32 v11, 0x1d4, v104
	v_mov_b32_e32 v15, v5
	v_mad_u32_u24 v10, 0x4e0, v9, v10
	v_fma_f64 v[64:65], v[64:65], 2.0, -v[86:87]
	v_mad_u64_u32 v[4:5], null, s3, v8, v[4:5]
	v_lshrrev_b32_e32 v5, 4, v11
	v_mad_u64_u32 v[8:9], null, s2, v10, 0
	v_add_nc_u32_e32 v12, 0x270, v10
	global_store_dwordx4 v[0:1], v[38:41], off
	v_mul_hi_u32 v5, 0x1a41a41b, v5
	global_store_dwordx4 v[2:3], v[88:91], off
	v_mov_b32_e32 v7, v4
	v_mad_u64_u32 v[3:4], null, s2, v12, 0
	v_lshlrev_b64 v[0:1], 4, v[14:15]
	v_mov_b32_e32 v2, v9
	v_add_nc_u32_e32 v14, 0x208, v104
	v_lshrrev_b32_e32 v13, 2, v5
	v_lshlrev_b64 v[5:6], 4, v[6:7]
	v_fma_f64 v[54:55], v[54:55], 2.0, -v[80:81]
	v_mad_u64_u32 v[9:10], null, s3, v10, v[2:3]
	v_add_co_u32 v0, vcc_lo, v198, v0
	v_mov_b32_e32 v2, v4
	v_mul_u32_u24_e32 v10, 0x270, v13
	v_add_co_ci_u32_e32 v1, vcc_lo, v199, v1, vcc_lo
	v_add_co_u32 v4, vcc_lo, v198, v5
	v_add_co_ci_u32_e32 v5, vcc_lo, v199, v6, vcc_lo
	v_mad_u64_u32 v[6:7], null, s3, v12, v[2:3]
	v_sub_nc_u32_e32 v2, v11, v10
	v_lshrrev_b32_e32 v7, 4, v14
	global_store_dwordx4 v[0:1], v[62:65], off
	global_store_dwordx4 v[4:5], v[84:87], off
	v_add_nc_u32_e32 v11, 0x23c, v104
	v_lshlrev_b64 v[0:1], 4, v[8:9]
	v_mad_u32_u24 v10, 0x4e0, v13, v2
	v_mul_hi_u32 v2, 0x1a41a41b, v7
	v_mov_b32_e32 v4, v6
	v_lshrrev_b32_e32 v15, 4, v11
	v_add_f64 v[28:29], v[58:59], -v[28:29]
	v_mad_u64_u32 v[5:6], null, s2, v10, 0
	v_add_nc_u32_e32 v12, 0x270, v10
	v_add_co_u32 v0, vcc_lo, v198, v0
	v_lshrrev_b32_e32 v9, 2, v2
	v_lshlrev_b64 v[2:3], 4, v[3:4]
	v_add_co_ci_u32_e32 v1, vcc_lo, v199, v1, vcc_lo
	v_mov_b32_e32 v4, v6
	v_mul_u32_u24_e32 v13, 0x270, v9
	v_fma_f64 v[52:53], v[70:71], 2.0, -v[26:27]
	v_add_co_u32 v2, vcc_lo, v198, v2
	v_mad_u64_u32 v[6:7], null, s3, v10, v[4:5]
	v_mul_hi_u32 v10, 0x1a41a41b, v15
	v_sub_nc_u32_e32 v4, v14, v13
	v_mad_u64_u32 v[7:8], null, s2, v12, 0
	v_add_co_ci_u32_e32 v3, vcc_lo, v199, v3, vcc_lo
	v_mad_u32_u24 v13, 0x4e0, v9, v4
	global_store_dwordx4 v[0:1], v[54:57], off
	v_lshrrev_b32_e32 v10, 2, v10
	global_store_dwordx4 v[2:3], v[80:83], off
	v_mov_b32_e32 v2, v8
	v_add_nc_u32_e32 v14, 0x270, v13
	v_mad_u64_u32 v[3:4], null, s2, v13, 0
	v_mul_u32_u24_e32 v8, 0x270, v10
	v_lshlrev_b64 v[0:1], 4, v[5:6]
	v_mad_u64_u32 v[5:6], null, s2, v14, 0
	v_fma_f64 v[58:59], v[58:59], 2.0, -v[28:29]
	v_sub_nc_u32_e32 v11, v11, v8
	v_mad_u64_u32 v[8:9], null, s3, v12, v[2:3]
	v_add_co_u32 v0, vcc_lo, v198, v0
	v_mad_u32_u24 v15, 0x4e0, v10, v11
	v_mad_u64_u32 v[9:10], null, s3, v13, v[4:5]
	v_mov_b32_e32 v2, v6
	v_add_co_ci_u32_e32 v1, vcc_lo, v199, v1, vcc_lo
	v_mad_u64_u32 v[10:11], null, s2, v15, 0
	v_add_nc_u32_e32 v16, 0x270, v15
	v_mad_u64_u32 v[12:13], null, s3, v14, v[2:3]
	global_store_dwordx4 v[0:1], v[66:69], off
	v_lshlrev_b64 v[1:2], 4, v[7:8]
	v_mad_u64_u32 v[13:14], null, s2, v16, 0
	v_mov_b32_e32 v0, v11
	v_mov_b32_e32 v4, v9
	;; [unrolled: 1-line block ×3, first 2 shown]
	v_mad_u64_u32 v[7:8], null, s3, v15, v[0:1]
	v_mov_b32_e32 v0, v14
	v_add_co_u32 v1, vcc_lo, v198, v1
	v_lshlrev_b64 v[3:4], 4, v[3:4]
	v_lshlrev_b64 v[5:6], 4, v[5:6]
	v_add_co_ci_u32_e32 v2, vcc_lo, v199, v2, vcc_lo
	v_mad_u64_u32 v[8:9], null, s3, v16, v[0:1]
	v_mov_b32_e32 v11, v7
	v_add_co_u32 v3, vcc_lo, v198, v3
	v_add_co_ci_u32_e32 v4, vcc_lo, v199, v4, vcc_lo
	v_lshlrev_b64 v[9:10], 4, v[10:11]
	v_mov_b32_e32 v14, v8
	v_add_co_u32 v5, vcc_lo, v198, v5
	v_add_co_ci_u32_e32 v6, vcc_lo, v199, v6, vcc_lo
	v_lshlrev_b64 v[7:8], 4, v[13:14]
	v_add_co_u32 v9, vcc_lo, v198, v9
	v_add_co_ci_u32_e32 v10, vcc_lo, v199, v10, vcc_lo
	v_add_co_u32 v7, vcc_lo, v198, v7
	v_add_co_ci_u32_e32 v8, vcc_lo, v199, v8, vcc_lo
	global_store_dwordx4 v[1:2], v[32:35], off
	global_store_dwordx4 v[3:4], v[58:61], off
	;; [unrolled: 1-line block ×5, first 2 shown]
.LBB0_23:
	s_endpgm
	.section	.rodata,"a",@progbits
	.p2align	6, 0x0
	.amdhsa_kernel fft_rtc_back_len1248_factors_2_2_13_2_3_2_2_wgs_52_tpt_52_halfLds_dp_op_CI_CI_sbrr_dirReg
		.amdhsa_group_segment_fixed_size 0
		.amdhsa_private_segment_fixed_size 0
		.amdhsa_kernarg_size 104
		.amdhsa_user_sgpr_count 6
		.amdhsa_user_sgpr_private_segment_buffer 1
		.amdhsa_user_sgpr_dispatch_ptr 0
		.amdhsa_user_sgpr_queue_ptr 0
		.amdhsa_user_sgpr_kernarg_segment_ptr 1
		.amdhsa_user_sgpr_dispatch_id 0
		.amdhsa_user_sgpr_flat_scratch_init 0
		.amdhsa_user_sgpr_private_segment_size 0
		.amdhsa_wavefront_size32 1
		.amdhsa_uses_dynamic_stack 0
		.amdhsa_system_sgpr_private_segment_wavefront_offset 0
		.amdhsa_system_sgpr_workgroup_id_x 1
		.amdhsa_system_sgpr_workgroup_id_y 0
		.amdhsa_system_sgpr_workgroup_id_z 0
		.amdhsa_system_sgpr_workgroup_info 0
		.amdhsa_system_vgpr_workitem_id 0
		.amdhsa_next_free_vgpr 241
		.amdhsa_next_free_sgpr 48
		.amdhsa_reserve_vcc 1
		.amdhsa_reserve_flat_scratch 0
		.amdhsa_float_round_mode_32 0
		.amdhsa_float_round_mode_16_64 0
		.amdhsa_float_denorm_mode_32 3
		.amdhsa_float_denorm_mode_16_64 3
		.amdhsa_dx10_clamp 1
		.amdhsa_ieee_mode 1
		.amdhsa_fp16_overflow 0
		.amdhsa_workgroup_processor_mode 1
		.amdhsa_memory_ordered 1
		.amdhsa_forward_progress 0
		.amdhsa_shared_vgpr_count 0
		.amdhsa_exception_fp_ieee_invalid_op 0
		.amdhsa_exception_fp_denorm_src 0
		.amdhsa_exception_fp_ieee_div_zero 0
		.amdhsa_exception_fp_ieee_overflow 0
		.amdhsa_exception_fp_ieee_underflow 0
		.amdhsa_exception_fp_ieee_inexact 0
		.amdhsa_exception_int_div_zero 0
	.end_amdhsa_kernel
	.text
.Lfunc_end0:
	.size	fft_rtc_back_len1248_factors_2_2_13_2_3_2_2_wgs_52_tpt_52_halfLds_dp_op_CI_CI_sbrr_dirReg, .Lfunc_end0-fft_rtc_back_len1248_factors_2_2_13_2_3_2_2_wgs_52_tpt_52_halfLds_dp_op_CI_CI_sbrr_dirReg
                                        ; -- End function
	.section	.AMDGPU.csdata,"",@progbits
; Kernel info:
; codeLenInByte = 24052
; NumSgprs: 50
; NumVgprs: 241
; ScratchSize: 0
; MemoryBound: 1
; FloatMode: 240
; IeeeMode: 1
; LDSByteSize: 0 bytes/workgroup (compile time only)
; SGPRBlocks: 6
; VGPRBlocks: 30
; NumSGPRsForWavesPerEU: 50
; NumVGPRsForWavesPerEU: 241
; Occupancy: 4
; WaveLimiterHint : 1
; COMPUTE_PGM_RSRC2:SCRATCH_EN: 0
; COMPUTE_PGM_RSRC2:USER_SGPR: 6
; COMPUTE_PGM_RSRC2:TRAP_HANDLER: 0
; COMPUTE_PGM_RSRC2:TGID_X_EN: 1
; COMPUTE_PGM_RSRC2:TGID_Y_EN: 0
; COMPUTE_PGM_RSRC2:TGID_Z_EN: 0
; COMPUTE_PGM_RSRC2:TIDIG_COMP_CNT: 0
	.text
	.p2alignl 6, 3214868480
	.fill 48, 4, 3214868480
	.type	__hip_cuid_259d6f9fccf97eb0,@object ; @__hip_cuid_259d6f9fccf97eb0
	.section	.bss,"aw",@nobits
	.globl	__hip_cuid_259d6f9fccf97eb0
__hip_cuid_259d6f9fccf97eb0:
	.byte	0                               ; 0x0
	.size	__hip_cuid_259d6f9fccf97eb0, 1

	.ident	"AMD clang version 19.0.0git (https://github.com/RadeonOpenCompute/llvm-project roc-6.4.0 25133 c7fe45cf4b819c5991fe208aaa96edf142730f1d)"
	.section	".note.GNU-stack","",@progbits
	.addrsig
	.addrsig_sym __hip_cuid_259d6f9fccf97eb0
	.amdgpu_metadata
---
amdhsa.kernels:
  - .args:
      - .actual_access:  read_only
        .address_space:  global
        .offset:         0
        .size:           8
        .value_kind:     global_buffer
      - .offset:         8
        .size:           8
        .value_kind:     by_value
      - .actual_access:  read_only
        .address_space:  global
        .offset:         16
        .size:           8
        .value_kind:     global_buffer
      - .actual_access:  read_only
        .address_space:  global
        .offset:         24
        .size:           8
        .value_kind:     global_buffer
      - .actual_access:  read_only
        .address_space:  global
        .offset:         32
        .size:           8
        .value_kind:     global_buffer
      - .offset:         40
        .size:           8
        .value_kind:     by_value
      - .actual_access:  read_only
        .address_space:  global
        .offset:         48
        .size:           8
        .value_kind:     global_buffer
      - .actual_access:  read_only
        .address_space:  global
        .offset:         56
        .size:           8
        .value_kind:     global_buffer
      - .offset:         64
        .size:           4
        .value_kind:     by_value
      - .actual_access:  read_only
        .address_space:  global
        .offset:         72
        .size:           8
        .value_kind:     global_buffer
      - .actual_access:  read_only
        .address_space:  global
        .offset:         80
        .size:           8
        .value_kind:     global_buffer
      - .actual_access:  read_only
        .address_space:  global
        .offset:         88
        .size:           8
        .value_kind:     global_buffer
      - .actual_access:  write_only
        .address_space:  global
        .offset:         96
        .size:           8
        .value_kind:     global_buffer
    .group_segment_fixed_size: 0
    .kernarg_segment_align: 8
    .kernarg_segment_size: 104
    .language:       OpenCL C
    .language_version:
      - 2
      - 0
    .max_flat_workgroup_size: 52
    .name:           fft_rtc_back_len1248_factors_2_2_13_2_3_2_2_wgs_52_tpt_52_halfLds_dp_op_CI_CI_sbrr_dirReg
    .private_segment_fixed_size: 0
    .sgpr_count:     50
    .sgpr_spill_count: 0
    .symbol:         fft_rtc_back_len1248_factors_2_2_13_2_3_2_2_wgs_52_tpt_52_halfLds_dp_op_CI_CI_sbrr_dirReg.kd
    .uniform_work_group_size: 1
    .uses_dynamic_stack: false
    .vgpr_count:     241
    .vgpr_spill_count: 0
    .wavefront_size: 32
    .workgroup_processor_mode: 1
amdhsa.target:   amdgcn-amd-amdhsa--gfx1030
amdhsa.version:
  - 1
  - 2
...

	.end_amdgpu_metadata
